;; amdgpu-corpus repo=ROCm/aiter kind=harvested arch=n/a opt=n/a

/root/src/amdgpu-assembly/repos/ROCm__aiter/hsa/gfx950/fmoe_2stages/fmoe_stage1_bf16_pertokenFp8_doweight_g1u1_128x64_pf3.co:	file format elf64-amdgpu

Disassembly of section .text:

0000000000002a00 <_ZN5aiter53fmoe_stage1_bf16_pertokenFp8_doweight_g1u1_128x64_pf3E>:
	s_and_b32 s1, s1, 0xffff                                   // 000000002A00: 8601FF01 0000FFFF
	s_load_dwordx2 s[8:9], s[0:1], 0x0                         // 000000002A08: C0060200 00000000
	s_load_dwordx2 s[20:21], s[0:1], 0x10                      // 000000002A10: C0060500 00000010
	s_load_dwordx2 s[24:25], s[0:1], 0x20                      // 000000002A18: C0060600 00000020
	s_load_dwordx2 s[48:49], s[0:1], 0x30                      // 000000002A20: C0060C00 00000030
	s_load_dwordx2 s[28:29], s[0:1], 0x40                      // 000000002A28: C0060700 00000040
	s_load_dwordx2 s[32:33], s[0:1], 0x50                      // 000000002A30: C0060800 00000050
	s_load_dwordx2 s[36:37], s[0:1], 0x60                      // 000000002A38: C0060900 00000060
	s_load_dwordx2 s[12:13], s[0:1], 0x70                      // 000000002A40: C0060300 00000070
	s_load_dwordx2 s[44:45], s[0:1], 0x80                      // 000000002A48: C0060B00 00000080
	s_mov_b32 s89, 0                                           // 000000002A50: BED90080
	s_load_dword s64, s[0:1], 0x90                             // 000000002A54: C0021000 00000090
	s_load_dword s65, s[0:1], 0xa0                             // 000000002A5C: C0021040 000000A0
	s_load_dword s66, s[0:1], 0xb0                             // 000000002A64: C0021080 000000B0
	s_load_dword s67, s[0:1], 0xc0                             // 000000002A6C: C00210C0 000000C0
	s_load_dword s68, s[0:1], 0xd0                             // 000000002A74: C0021100 000000D0
	s_load_dword s69, s[0:1], 0xe0                             // 000000002A7C: C0021140 000000E0
	s_load_dword s71, s[0:1], 0xf0                             // 000000002A84: C00211C0 000000F0
	s_load_dword s72, s[0:1], 0x100                            // 000000002A8C: C0021200 00000100
	s_load_dword s74, s[0:1], 0x110                            // 000000002A94: C0021280 00000110
	s_load_dword s76, s[0:1], 0x120                            // 000000002A9C: C0021300 00000120
	s_load_dword s56, s[0:1], 0x130                            // 000000002AA4: C0020E00 00000130
	s_load_dword s88, s[0:1], 0x140                            // 000000002AAC: C0021600 00000140
	s_load_dword s89, s[0:1], 0x150                            // 000000002AB4: C0021640 00000150
	s_load_dwordx2 s[40:41], s[0:1], 0x160                     // 000000002ABC: C0060A00 00000160
	v_lshrrev_b32_e32 v1, 10, v0                               // 000000002AC4: 2002008A
	v_lshrrev_b32_e32 v2, 10, v1                               // 000000002AC8: 2004028A
	v_and_b32_e32 v2, 0x3ff, v2                                // 000000002ACC: 260404FF 000003FF
	v_and_b32_e32 v1, 0x3ff, v1                                // 000000002AD4: 260202FF 000003FF
	v_and_b32_e32 v0, 0x3ff, v0                                // 000000002ADC: 260000FF 000003FF
	v_lshrrev_b32_e32 v3, 6, v0                                // 000000002AE4: 20060086
	v_and_b32_e32 v0, 63, v0                                   // 000000002AE8: 260000BF
	s_mov_b32 s2, s2                                           // 000000002AEC: BE820002
	s_mov_b32 s3, s3                                           // 000000002AF0: BE830003
	s_mov_b32 s4, s4                                           // 000000002AF4: BE840004
	v_readfirstlane_b32 s7, v3                                 // 000000002AF8: 7E0E0503
	s_waitcnt lgkmcnt(0)                                       // 000000002AFC: BF8CC07F
	s_and_b32 s49, s49, 0xffff                                 // 000000002B00: 8631FF31 0000FFFF
	s_load_dword s48, s[48:49], 0x0                            // 000000002B08: C0020C18 00000000
	s_and_b32 s45, s45, 0xffff                                 // 000000002B10: 862DFF2D 0000FFFF
	s_and_b32 s9, s9, 0xffff                                   // 000000002B18: 8609FF09 0000FFFF
	s_mul_i32 s60, s66, s68                                    // 000000002B20: 923C4442
	s_mul_i32 s61, s66, 4                                      // 000000002B24: 923D8442
	s_mov_b32 s22, s60                                         // 000000002B28: BE96003C
	s_mov_b32 s26, -16                                         // 000000002B2C: BE9A00D0
	s_mov_b32 s30, s61                                         // 000000002B30: BE9E003D
	s_mov_b32 s14, 0x200                                       // 000000002B34: BE8E00FF 00000200
	s_mov_b32 s38, -16                                         // 000000002B3C: BEA600D0
	s_mov_b32 s10, -16                                         // 000000002B40: BE8A00D0
	s_mov_b32 s34, 0x100                                       // 000000002B44: BEA200FF 00000100
	s_mov_b32 s23, 0x20000                                     // 000000002B4C: BE9700FF 00020000
	s_mov_b32 s27, 0x20000                                     // 000000002B54: BE9B00FF 00020000
	s_mov_b32 s31, 0x20000                                     // 000000002B5C: BE9F00FF 00020000
	s_mov_b32 s35, 0x20000                                     // 000000002B64: BEA300FF 00020000
	s_mov_b32 s15, 0x20000                                     // 000000002B6C: BE8F00FF 00020000
	s_mov_b32 s39, 0x20000                                     // 000000002B74: BEA700FF 00020000
	s_mov_b32 s11, 0x20000                                     // 000000002B7C: BE8B00FF 00020000
	s_and_b32 s21, s21, 0xffff                                 // 000000002B84: 8615FF15 0000FFFF
	s_and_b32 s25, s25, 0xffff                                 // 000000002B8C: 8619FF19 0000FFFF
	s_and_b32 s29, s29, 0xffff                                 // 000000002B94: 861DFF1D 0000FFFF
	s_and_b32 s33, s33, 0xffff                                 // 000000002B9C: 8621FF21 0000FFFF
	s_and_b32 s13, s13, 0xffff                                 // 000000002BA4: 860DFF0D 0000FFFF
	s_and_b32 s37, s37, 0xffff                                 // 000000002BAC: 8625FF25 0000FFFF
	s_or_b32 s21, s21, 0x40000                                 // 000000002BB4: 8715FF15 00040000
	s_or_b32 s25, s25, 0x40000                                 // 000000002BBC: 8719FF19 00040000
	s_or_b32 s29, s29, 0x40000                                 // 000000002BC4: 871DFF1D 00040000
	s_or_b32 s33, s33, 0x40000                                 // 000000002BCC: 8721FF21 00040000
	s_or_b32 s13, s13, 0x40000                                 // 000000002BD4: 870DFF0D 00040000
	s_or_b32 s37, s37, 0x40000                                 // 000000002BDC: 8725FF25 00040000
	s_mov_b32 s42, -16                                         // 000000002BE4: BEAA00D0
	s_mov_b32 s43, 0x20000                                     // 000000002BE8: BEAB00FF 00020000
	s_and_b32 s41, s41, 0xffff                                 // 000000002BF0: 8629FF29 0000FFFF
	s_or_b32 s41, s41, 0x40000                                 // 000000002BF8: 8729FF29 00040000
	v_accvgpr_write_b32 a151, 0                                // 000000002C00: D3D94097 18000080
	v_mov_b32_e32 v151, 0                                      // 000000002C08: 7F2E0280
	s_waitcnt lgkmcnt(0)                                       // 000000002C0C: BF8CC07F
	s_mul_i32 s60, s3, 0x80                                    // 000000002C10: 923CFF03 00000080
	s_cmp_lt_i32 s60, s48                                      // 000000002C18: BF04303C
	s_cbranch_scc0 label_2A93                                  // 000000002C1C: BF842A08
	s_mov_b32 s80, 0                                           // 000000002C20: BED00080
	s_lshr_b32 s81, s64, s88                                   // 000000002C24: 8F515840
	s_mul_i32 s60, s3, 4                                       // 000000002C28: 923C8403
	s_add_u32 s44, s60, s44                                    // 000000002C2C: 802C2C3C
	s_addc_u32 s45, 0, s45                                     // 000000002C30: 822D2D80
	s_load_dword s5, s[44:45], 0x0                             // 000000002C34: C0020156 00000000
	s_mul_i32 s60, s3, 0x80                                    // 000000002C3C: 923CFF03 00000080
	s_mul_i32 s60, 4, s60                                      // 000000002C44: 923C3C84
	s_add_u32 s12, s60, s12                                    // 000000002C48: 800C0C3C
	s_addc_u32 s13, 0, s13                                     // 000000002C4C: 820D0D80
	v_and_b32_e32 v4, 15, v0                                   // 000000002C50: 2608008F
	v_lshlrev_b32_e32 v4, 2, v4                                // 000000002C54: 24080882
	buffer_load_dword v30, v4, s[12:15], 0 offen               // 000000002C58: E0501000 80031E04
	v_add_u32_e32 v4, 64, v4                                   // 000000002C60: 680808C0
	buffer_load_dword v31, v4, s[12:15], 0 offen               // 000000002C64: E0501000 80031F04
	v_add_u32_e32 v4, 64, v4                                   // 000000002C6C: 680808C0
	buffer_load_dword v32, v4, s[12:15], 0 offen               // 000000002C70: E0501000 80032004
	v_add_u32_e32 v4, 64, v4                                   // 000000002C78: 680808C0
	buffer_load_dword v33, v4, s[12:15], 0 offen               // 000000002C7C: E0501000 80032104
	v_add_u32_e32 v4, 64, v4                                   // 000000002C84: 680808C0
	buffer_load_dword v34, v4, s[12:15], 0 offen               // 000000002C88: E0501000 80032204
	v_add_u32_e32 v4, 64, v4                                   // 000000002C90: 680808C0
	buffer_load_dword v35, v4, s[12:15], 0 offen               // 000000002C94: E0501000 80032304
	v_add_u32_e32 v4, 64, v4                                   // 000000002C9C: 680808C0
	buffer_load_dword v36, v4, s[12:15], 0 offen               // 000000002CA0: E0501000 80032404
	v_add_u32_e32 v4, 64, v4                                   // 000000002CA8: 680808C0
	buffer_load_dword v37, v4, s[12:15], 0 offen               // 000000002CAC: E0501000 80032504
	v_add_u32_e32 v4, 64, v4                                   // 000000002CB4: 680808C0
	s_mul_i32 s60, 4, s7                                       // 000000002CB8: 923C0784
	v_lshlrev_b32_e32 v4, 4, v0                                // 000000002CBC: 24080084
	v_add_u32_e32 v4, s60, v4                                  // 000000002CC0: 6808083C
	buffer_load_dword v3, v4, s[12:15], 0 offen                // 000000002CC4: E0501000 80030304
	v_mov_b32_e32 v80, 0                                       // 000000002CCC: 7EA00280
	v_mov_b32_e32 v112, 0                                      // 000000002CD0: 7EE00280
	v_mov_b32_e32 v81, 0                                       // 000000002CD4: 7EA20280
	v_mov_b32_e32 v113, 0                                      // 000000002CD8: 7EE20280
	v_mov_b32_e32 v82, 0                                       // 000000002CDC: 7EA40280
	v_mov_b32_e32 v114, 0                                      // 000000002CE0: 7EE40280
	v_mov_b32_e32 v83, 0                                       // 000000002CE4: 7EA60280
	v_mov_b32_e32 v115, 0                                      // 000000002CE8: 7EE60280
	v_mov_b32_e32 v84, 0                                       // 000000002CEC: 7EA80280
	v_mov_b32_e32 v116, 0                                      // 000000002CF0: 7EE80280
	v_mov_b32_e32 v85, 0                                       // 000000002CF4: 7EAA0280
	v_mov_b32_e32 v117, 0                                      // 000000002CF8: 7EEA0280
	v_mov_b32_e32 v86, 0                                       // 000000002CFC: 7EAC0280
	v_mov_b32_e32 v118, 0                                      // 000000002D00: 7EEC0280
	v_mov_b32_e32 v87, 0                                       // 000000002D04: 7EAE0280
	v_mov_b32_e32 v119, 0                                      // 000000002D08: 7EEE0280
	v_mov_b32_e32 v88, 0                                       // 000000002D0C: 7EB00280
	v_mov_b32_e32 v120, 0                                      // 000000002D10: 7EF00280
	v_mov_b32_e32 v89, 0                                       // 000000002D14: 7EB20280
	v_mov_b32_e32 v121, 0                                      // 000000002D18: 7EF20280
	v_mov_b32_e32 v90, 0                                       // 000000002D1C: 7EB40280
	v_mov_b32_e32 v122, 0                                      // 000000002D20: 7EF40280
	v_mov_b32_e32 v91, 0                                       // 000000002D24: 7EB60280
	v_mov_b32_e32 v123, 0                                      // 000000002D28: 7EF60280
	v_mov_b32_e32 v92, 0                                       // 000000002D2C: 7EB80280
	v_mov_b32_e32 v124, 0                                      // 000000002D30: 7EF80280
	v_mov_b32_e32 v93, 0                                       // 000000002D34: 7EBA0280
	v_mov_b32_e32 v125, 0                                      // 000000002D38: 7EFA0280
	v_mov_b32_e32 v94, 0                                       // 000000002D3C: 7EBC0280
	v_mov_b32_e32 v126, 0                                      // 000000002D40: 7EFC0280
	v_mov_b32_e32 v95, 0                                       // 000000002D44: 7EBE0280
	v_mov_b32_e32 v127, 0                                      // 000000002D48: 7EFE0280
	v_mov_b32_e32 v96, 0                                       // 000000002D4C: 7EC00280
	v_mov_b32_e32 v128, 0                                      // 000000002D50: 7F000280
	v_mov_b32_e32 v97, 0                                       // 000000002D54: 7EC20280
	v_mov_b32_e32 v129, 0                                      // 000000002D58: 7F020280
	v_mov_b32_e32 v98, 0                                       // 000000002D5C: 7EC40280
	v_mov_b32_e32 v130, 0                                      // 000000002D60: 7F040280
	v_mov_b32_e32 v99, 0                                       // 000000002D64: 7EC60280
	v_mov_b32_e32 v131, 0                                      // 000000002D68: 7F060280
	v_mov_b32_e32 v100, 0                                      // 000000002D6C: 7EC80280
	v_mov_b32_e32 v132, 0                                      // 000000002D70: 7F080280
	v_mov_b32_e32 v101, 0                                      // 000000002D74: 7ECA0280
	v_mov_b32_e32 v133, 0                                      // 000000002D78: 7F0A0280
	v_mov_b32_e32 v102, 0                                      // 000000002D7C: 7ECC0280
	v_mov_b32_e32 v134, 0                                      // 000000002D80: 7F0C0280
	v_mov_b32_e32 v103, 0                                      // 000000002D84: 7ECE0280
	v_mov_b32_e32 v135, 0                                      // 000000002D88: 7F0E0280
	v_mov_b32_e32 v104, 0                                      // 000000002D8C: 7ED00280
	v_mov_b32_e32 v136, 0                                      // 000000002D90: 7F100280
	v_mov_b32_e32 v105, 0                                      // 000000002D94: 7ED20280
	v_mov_b32_e32 v137, 0                                      // 000000002D98: 7F120280
	v_mov_b32_e32 v106, 0                                      // 000000002D9C: 7ED40280
	v_mov_b32_e32 v138, 0                                      // 000000002DA0: 7F140280
	v_mov_b32_e32 v107, 0                                      // 000000002DA4: 7ED60280
	v_mov_b32_e32 v139, 0                                      // 000000002DA8: 7F160280
	v_mov_b32_e32 v108, 0                                      // 000000002DAC: 7ED80280
	v_mov_b32_e32 v140, 0                                      // 000000002DB0: 7F180280
	v_mov_b32_e32 v109, 0                                      // 000000002DB4: 7EDA0280
	v_mov_b32_e32 v141, 0                                      // 000000002DB8: 7F1A0280
	v_mov_b32_e32 v110, 0                                      // 000000002DBC: 7EDC0280
	v_mov_b32_e32 v142, 0                                      // 000000002DC0: 7F1C0280
	v_mov_b32_e32 v111, 0                                      // 000000002DC4: 7EDE0280
	v_mov_b32_e32 v143, 0                                      // 000000002DC8: 7F1E0280
	s_mul_i32 s60, s2, 0x80                                    // 000000002DCC: 923CFF02 00000080
	s_cmp_eq_u32 s88, 0                                        // 000000002DD4: BF068058
	s_cselect_b32 s61, 1, 2                                    // 000000002DD8: 853D8281
	s_mul_i32 s60, s60, s61                                    // 000000002DDC: 923C3D3C
	s_mov_b32 s90, s8                                          // 000000002DE0: BEDA0008
	s_mov_b32 s91, s9                                          // 000000002DE4: BEDB0009
	s_add_u32 s8, s60, s8                                      // 000000002DE8: 8008083C
	s_addc_u32 s9, 0, s9                                       // 000000002DEC: 82090980
	v_lshrrev_b32_e32 v4, 4, v0                                // 000000002DF0: 20080084
	v_mul_lo_u32 v20, 34, v4                                   // 000000002DF4: D2850014 000208A2
	v_and_b32_e32 v4, 15, v0                                   // 000000002DFC: 2608008F
	v_mul_lo_u32 v5, 2, v4                                     // 000000002E00: D2850005 00020882
	v_add_u32_e32 v20, v5, v20                                 // 000000002E08: 68282905
	s_mul_i32 s60, s7, 0x88                                    // 000000002E0C: 923CFF07 00000088
	v_add_u32_e32 v20, s60, v20                                // 000000002E14: 6828283C
	v_lshlrev_b32_e32 v20, 2, v20                              // 000000002E18: 24282882
	v_and_b32_e32 v4, 31, v0                                   // 000000002E1C: 2608009F
	v_lshrrev_b32_e32 v4, 1, v4                                // 000000002E20: 20080881
	v_mul_lo_u32 v21, 34, v4                                   // 000000002E24: D2850015 000208A2
	v_lshrrev_b32_e32 v4, 5, v0                                // 000000002E2C: 20080085
	v_mul_lo_u32 v4, 8, v4                                     // 000000002E30: D2850004 00020888
	v_add_u32_e32 v21, v21, v4                                 // 000000002E38: 682A0915
	v_and_b32_e32 v5, 1, v0                                    // 000000002E3C: 260A0081
	v_add_u32_e32 v21, v5, v21                                 // 000000002E40: 682A2B05
	s_mul_i32 s60, s7, 2                                       // 000000002E44: 923C8207
	v_add_u32_e32 v21, s60, v21                                // 000000002E48: 682A2A3C
	v_lshlrev_b32_e32 v21, 2, v21                              // 000000002E4C: 242A2A82
	s_mul_i32 s60, s7, 0x1020                                  // 000000002E50: 923CFF07 00001020
	s_add_u32 s48, 0, s60                                      // 000000002E58: 80303C80
	s_add_u32 s49, 0x4080, s48                                 // 000000002E5C: 803130FF 00004080
	s_add_u32 s50, 0x4080, s49                                 // 000000002E64: 803231FF 00004080
	v_lshrrev_b32_e32 v4, 4, v0                                // 000000002E6C: 20080084
	v_lshlrev_b32_e32 v5, 2, v4                                // 000000002E70: 240A0882
	v_and_b32_e32 v4, 15, v0                                   // 000000002E74: 2608008F
	v_lshrrev_b32_e32 v6, 2, v4                                // 000000002E78: 200C0882
	v_lshlrev_b32_e32 v6, 5, v6                                // 000000002E7C: 240C0C85
	v_add_u32_e32 v5, v6, v5                                   // 000000002E80: 680A0B06
	v_and_b32_e32 v4, 3, v0                                    // 000000002E84: 26080083
	v_mul_u32_u24_e32 v6, 0x408, v4                            // 000000002E88: 100C08FF 00000408
	v_add_u32_e32 v5, v6, v5                                   // 000000002E90: 680A0B06
	v_lshlrev_b32_e32 v2, 2, v5                                // 000000002E94: 24040A82
	s_waitcnt lgkmcnt(0)                                       // 000000002E98: BF8CC07F
	s_mul_i32 s60, s2, 64                                      // 000000002E9C: 923CC002
	s_mul_i32 s60, s60, s69                                    // 000000002EA0: 923C453C
	s_mul_i32 s61, s5, s72                                     // 000000002EA4: 923D4805
	s_add_u32 s60, s61, s60                                    // 000000002EA8: 803C3C3D
	s_add_u32 s24, s60, s24                                    // 000000002EAC: 8018183C
	s_addc_u32 s25, 0, s25                                     // 000000002EB0: 82191980
	s_lshr_b32 s60, s64, s88                                   // 000000002EB4: 8F3C5840
	s_mul_i32 s60, s4, s60                                     // 000000002EB8: 923C3C04
	s_lshr_b32 s60, s60, 7                                     // 000000002EBC: 8F3C873C
	s_mul_i32 s60, s60, 0x800                                  // 000000002EC0: 923CFF3C 00000800
	s_add_u32 s24, s60, s24                                    // 000000002EC8: 8018183C
	s_addc_u32 s25, 0, s25                                     // 000000002ECC: 82191980
	s_lshr_b32 s60, s69, s88                                   // 000000002ED0: 8F3C5845
	s_mul_i32 s60, s4, s60                                     // 000000002ED4: 923C3C04
	s_add_u32 s20, s60, s20                                    // 000000002ED8: 8014143C
	s_addc_u32 s21, 0, s21                                     // 000000002EDC: 82151580
	s_mul_i32 s60, s7, 16                                      // 000000002EE0: 923C9007
	s_mul_i32 s60, s60, s69                                    // 000000002EE4: 923C453C
	v_lshlrev_b32_e32 v78, 4, v0                               // 000000002EE8: 249C0084
	v_add_u32_e32 v78, s60, v78                                // 000000002EEC: 689C9C3C
	s_mul_i32 s60, 64, s69                                     // 000000002EF0: 923C45C0
	s_mov_b32 s84, s24                                         // 000000002EF4: BED40018
	s_mov_b32 s85, s25                                         // 000000002EF8: BED50019
	s_mov_b32 s86, s26                                         // 000000002EFC: BED6001A
	s_mov_b32 s87, s27                                         // 000000002F00: BED7001B
	s_mul_i32 s60, s69, s65                                    // 000000002F04: 923C4145
	s_add_u32 s84, s60, s84                                    // 000000002F08: 8054543C
	s_addc_u32 s85, 0, s85                                     // 000000002F0C: 82555580
	v_lshrrev_b32_e32 v4, 4, v0                                // 000000002F10: 20080084
	v_lshlrev_b32_e32 v5, 2, v4                                // 000000002F14: 240A0882
	v_and_b32_e32 v4, 15, v0                                   // 000000002F18: 2608008F
	v_lshrrev_b32_e32 v6, 2, v4                                // 000000002F1C: 200C0882
	v_lshlrev_b32_e32 v6, 6, v6                                // 000000002F20: 240C0C86
	v_add_u32_e32 v5, v6, v5                                   // 000000002F24: 680A0B06
	v_and_b32_e32 v4, 3, v0                                    // 000000002F28: 26080083
	v_add_u32_e32 v5, v4, v5                                   // 000000002F2C: 680A0B04
	v_lshlrev_b32_e32 v22, 2, v5                               // 000000002F30: 242C0A82
	s_mul_i32 s60, s7, 16                                      // 000000002F34: 923C9007
	s_mul_i32 s60, s60, 4                                      // 000000002F38: 923C843C
	v_add_u32_e32 v22, s60, v22                                // 000000002F3C: 682C2C3C
	s_mul_i32 s60, s2, 64                                      // 000000002F40: 923CC002
	s_mul_i32 s60, s60, 4                                      // 000000002F44: 923C843C
	s_mul_i32 s61, s5, s74                                     // 000000002F48: 923D4A05
	s_add_u32 s61, s61, s60                                    // 000000002F4C: 803D3C3D
	s_add_u32 s32, s61, s32                                    // 000000002F50: 8020203D
	s_addc_u32 s33, 0, s33                                     // 000000002F54: 82212180
	s_mov_b32 s57, 0x80                                        // 000000002F58: BEB900FF 00000080
	s_mov_b32 s58, 0x800                                       // 000000002F60: BEBA00FF 00000800
	s_mov_b32 s83, s58                                         // 000000002F68: BED3003A
	s_mov_b32 s52, 0x7060302                                   // 000000002F6C: BEB400FF 07060302
	s_mov_b32 s53, 0x400                                       // 000000002F74: BEB500FF 00000400
	s_mov_b32 s54, 0x40100                                     // 000000002F7C: BEB600FF 00040100
	s_mov_b32 s55, 0x4020100                                   // 000000002F84: BEB700FF 04020100
	s_mov_b32 s6, 0x3fb8aa3b                                   // 000000002F8C: BE8600FF 3FB8AA3B
	s_mov_b32 s78, 0xbd92220c                                  // 000000002F94: BECE00FF BD92220C
	s_mov_b32 s79, 0xbd92220c                                  // 000000002F9C: BECF00FF BD92220C
	s_mov_b32 m0, s48                                          // 000000002FA4: BEFC0030
	v_mov_b32_e32 v1, 0xbfcc4231                               // 000000002FA8: 7E0202FF BFCC4231
	v_mov_b32_e32 v17, 0xffff0000                              // 000000002FB0: 7E2202FF FFFF0000
	v_mov_b32_e32 v18, 0x7fff0000                              // 000000002FB8: 7E2402FF 7FFF0000
	v_mov_b32_e32 v19, 0x7fff                                  // 000000002FC0: 7E2602FF 00007FFF
	s_waitcnt vmcnt(0) expcnt(0) lgkmcnt(0)                    // 000000002FC8: BF8C0000
	s_mul_i32 s60, s3, 0x80                                    // 000000002FCC: 923CFF03 00000080
	s_mul_i32 s60, 4, s60                                      // 000000002FD4: 923C3C84
	s_add_u32 s40, s60, s40                                    // 000000002FD8: 8028283C
	s_addc_u32 s41, 0, s41                                     // 000000002FDC: 82292980
	v_and_b32_e32 v4, 15, v0                                   // 000000002FE0: 2608008F
	v_lshlrev_b32_e32 v4, 2, v4                                // 000000002FE4: 24080882
	buffer_load_dword v144, v4, s[40:43], 0 offen              // 000000002FE8: E0501000 800A9004
	buffer_load_dword v145, v4, s[40:43], 0 offen offset:64    // 000000002FF0: E0501040 800A9104
	buffer_load_dword v146, v4, s[40:43], 0 offen offset:128   // 000000002FF8: E0501080 800A9204
	buffer_load_dword v147, v4, s[40:43], 0 offen offset:192   // 000000003000: E05010C0 800A9304
	buffer_load_dword v148, v4, s[40:43], 0 offen offset:256   // 000000003008: E0501100 800A9404
	buffer_load_dword v149, v4, s[40:43], 0 offen offset:320   // 000000003010: E0501140 800A9504
	buffer_load_dword v150, v4, s[40:43], 0 offen offset:384   // 000000003018: E0501180 800A9604
	buffer_load_dword v151, v4, s[40:43], 0 offen offset:448   // 000000003020: E05011C0 800A9704
	v_lshrrev_b32_e32 v4, 5, v0                                // 000000003028: 20080085
	v_xor_b32_e32 v5, 1, v4                                    // 00000000302C: 2A0A0881
	v_readlane_b32 s82, v3, 0                                  // 000000003030: D2890052 00010103
	s_and_b32 s82, s82, 0xffffff                               // 000000003038: 8652FF52 00FFFFFF
	v_mul_lo_u32 v6, v5, s82                                   // 000000003040: D2850006 0000A505
	v_readlane_b32 s82, v3, 1                                  // 000000003048: D2890052 00010303
	s_and_b32 s82, s82, 0xffffff                               // 000000003050: 8652FF52 00FFFFFF
	v_mul_lo_u32 v7, v4, s82                                   // 000000003058: D2850007 0000A504
	v_add_u32_e32 v62, v6, v7                                  // 000000003060: 687C0F06
	v_mul_lo_u32 v62, v62, s68                                 // 000000003064: D285003E 0000893E
	v_readlane_b32 s82, v3, 2                                  // 00000000306C: D2890052 00010503
	s_and_b32 s82, s82, 0xffffff                               // 000000003074: 8652FF52 00FFFFFF
	v_mul_lo_u32 v6, v5, s82                                   // 00000000307C: D2850006 0000A505
	v_readlane_b32 s82, v3, 3                                  // 000000003084: D2890052 00010703
	s_and_b32 s82, s82, 0xffffff                               // 00000000308C: 8652FF52 00FFFFFF
	v_mul_lo_u32 v7, v4, s82                                   // 000000003094: D2850007 0000A504
	v_add_u32_e32 v63, v6, v7                                  // 00000000309C: 687E0F06
	v_mul_lo_u32 v63, v63, s68                                 // 0000000030A0: D285003F 0000893F
	v_readlane_b32 s82, v3, 4                                  // 0000000030A8: D2890052 00010903
	s_and_b32 s82, s82, 0xffffff                               // 0000000030B0: 8652FF52 00FFFFFF
	v_mul_lo_u32 v6, v5, s82                                   // 0000000030B8: D2850006 0000A505
	v_readlane_b32 s82, v3, 5                                  // 0000000030C0: D2890052 00010B03
	s_and_b32 s82, s82, 0xffffff                               // 0000000030C8: 8652FF52 00FFFFFF
	v_mul_lo_u32 v7, v4, s82                                   // 0000000030D0: D2850007 0000A504
	v_add_u32_e32 v64, v6, v7                                  // 0000000030D8: 68800F06
	v_mul_lo_u32 v64, v64, s68                                 // 0000000030DC: D2850040 00008940
	v_readlane_b32 s82, v3, 6                                  // 0000000030E4: D2890052 00010D03
	s_and_b32 s82, s82, 0xffffff                               // 0000000030EC: 8652FF52 00FFFFFF
	v_mul_lo_u32 v6, v5, s82                                   // 0000000030F4: D2850006 0000A505
	v_readlane_b32 s82, v3, 7                                  // 0000000030FC: D2890052 00010F03
	s_and_b32 s82, s82, 0xffffff                               // 000000003104: 8652FF52 00FFFFFF
	v_mul_lo_u32 v7, v4, s82                                   // 00000000310C: D2850007 0000A504
	v_add_u32_e32 v65, v6, v7                                  // 000000003114: 68820F06
	v_mul_lo_u32 v65, v65, s68                                 // 000000003118: D2850041 00008941
	v_readlane_b32 s82, v3, 8                                  // 000000003120: D2890052 00011103
	s_and_b32 s82, s82, 0xffffff                               // 000000003128: 8652FF52 00FFFFFF
	v_mul_lo_u32 v6, v5, s82                                   // 000000003130: D2850006 0000A505
	v_readlane_b32 s82, v3, 9                                  // 000000003138: D2890052 00011303
	s_and_b32 s82, s82, 0xffffff                               // 000000003140: 8652FF52 00FFFFFF
	v_mul_lo_u32 v7, v4, s82                                   // 000000003148: D2850007 0000A504
	v_add_u32_e32 v66, v6, v7                                  // 000000003150: 68840F06
	v_mul_lo_u32 v66, v66, s68                                 // 000000003154: D2850042 00008942
	v_readlane_b32 s82, v3, 10                                 // 00000000315C: D2890052 00011503
	s_and_b32 s82, s82, 0xffffff                               // 000000003164: 8652FF52 00FFFFFF
	v_mul_lo_u32 v6, v5, s82                                   // 00000000316C: D2850006 0000A505
	v_readlane_b32 s82, v3, 11                                 // 000000003174: D2890052 00011703
	s_and_b32 s82, s82, 0xffffff                               // 00000000317C: 8652FF52 00FFFFFF
	v_mul_lo_u32 v7, v4, s82                                   // 000000003184: D2850007 0000A504
	v_add_u32_e32 v67, v6, v7                                  // 00000000318C: 68860F06
	v_mul_lo_u32 v67, v67, s68                                 // 000000003190: D2850043 00008943
	v_readlane_b32 s82, v3, 12                                 // 000000003198: D2890052 00011903
	s_and_b32 s82, s82, 0xffffff                               // 0000000031A0: 8652FF52 00FFFFFF
	v_mul_lo_u32 v6, v5, s82                                   // 0000000031A8: D2850006 0000A505
	v_readlane_b32 s82, v3, 13                                 // 0000000031B0: D2890052 00011B03
	s_and_b32 s82, s82, 0xffffff                               // 0000000031B8: 8652FF52 00FFFFFF
	v_mul_lo_u32 v7, v4, s82                                   // 0000000031C0: D2850007 0000A504
	v_add_u32_e32 v68, v6, v7                                  // 0000000031C8: 68880F06
	v_mul_lo_u32 v68, v68, s68                                 // 0000000031CC: D2850044 00008944
	v_readlane_b32 s82, v3, 14                                 // 0000000031D4: D2890052 00011D03
	s_and_b32 s82, s82, 0xffffff                               // 0000000031DC: 8652FF52 00FFFFFF
	v_mul_lo_u32 v6, v5, s82                                   // 0000000031E4: D2850006 0000A505
	v_readlane_b32 s82, v3, 15                                 // 0000000031EC: D2890052 00011F03
	s_and_b32 s82, s82, 0xffffff                               // 0000000031F4: 8652FF52 00FFFFFF
	v_mul_lo_u32 v7, v4, s82                                   // 0000000031FC: D2850007 0000A504
	v_add_u32_e32 v69, v6, v7                                  // 000000003204: 688A0F06
	v_mul_lo_u32 v69, v69, s68                                 // 000000003208: D2850045 00008945
	v_readlane_b32 s82, v3, 16                                 // 000000003210: D2890052 00012103
	s_and_b32 s82, s82, 0xffffff                               // 000000003218: 8652FF52 00FFFFFF
	v_mul_lo_u32 v6, v5, s82                                   // 000000003220: D2850006 0000A505
	v_readlane_b32 s82, v3, 17                                 // 000000003228: D2890052 00012303
	s_and_b32 s82, s82, 0xffffff                               // 000000003230: 8652FF52 00FFFFFF
	v_mul_lo_u32 v7, v4, s82                                   // 000000003238: D2850007 0000A504
	v_add_u32_e32 v70, v6, v7                                  // 000000003240: 688C0F06
	v_mul_lo_u32 v70, v70, s68                                 // 000000003244: D2850046 00008946
	v_readlane_b32 s82, v3, 18                                 // 00000000324C: D2890052 00012503
	s_and_b32 s82, s82, 0xffffff                               // 000000003254: 8652FF52 00FFFFFF
	v_mul_lo_u32 v6, v5, s82                                   // 00000000325C: D2850006 0000A505
	v_readlane_b32 s82, v3, 19                                 // 000000003264: D2890052 00012703
	s_and_b32 s82, s82, 0xffffff                               // 00000000326C: 8652FF52 00FFFFFF
	v_mul_lo_u32 v7, v4, s82                                   // 000000003274: D2850007 0000A504
	v_add_u32_e32 v71, v6, v7                                  // 00000000327C: 688E0F06
	v_mul_lo_u32 v71, v71, s68                                 // 000000003280: D2850047 00008947
	v_readlane_b32 s82, v3, 20                                 // 000000003288: D2890052 00012903
	s_and_b32 s82, s82, 0xffffff                               // 000000003290: 8652FF52 00FFFFFF
	v_mul_lo_u32 v6, v5, s82                                   // 000000003298: D2850006 0000A505
	v_readlane_b32 s82, v3, 21                                 // 0000000032A0: D2890052 00012B03
	s_and_b32 s82, s82, 0xffffff                               // 0000000032A8: 8652FF52 00FFFFFF
	v_mul_lo_u32 v7, v4, s82                                   // 0000000032B0: D2850007 0000A504
	v_add_u32_e32 v72, v6, v7                                  // 0000000032B8: 68900F06
	v_mul_lo_u32 v72, v72, s68                                 // 0000000032BC: D2850048 00008948
	v_readlane_b32 s82, v3, 22                                 // 0000000032C4: D2890052 00012D03
	s_and_b32 s82, s82, 0xffffff                               // 0000000032CC: 8652FF52 00FFFFFF
	v_mul_lo_u32 v6, v5, s82                                   // 0000000032D4: D2850006 0000A505
	v_readlane_b32 s82, v3, 23                                 // 0000000032DC: D2890052 00012F03
	s_and_b32 s82, s82, 0xffffff                               // 0000000032E4: 8652FF52 00FFFFFF
	v_mul_lo_u32 v7, v4, s82                                   // 0000000032EC: D2850007 0000A504
	v_add_u32_e32 v73, v6, v7                                  // 0000000032F4: 68920F06
	v_mul_lo_u32 v73, v73, s68                                 // 0000000032F8: D2850049 00008949
	v_readlane_b32 s82, v3, 24                                 // 000000003300: D2890052 00013103
	s_and_b32 s82, s82, 0xffffff                               // 000000003308: 8652FF52 00FFFFFF
	v_mul_lo_u32 v6, v5, s82                                   // 000000003310: D2850006 0000A505
	v_readlane_b32 s82, v3, 25                                 // 000000003318: D2890052 00013303
	s_and_b32 s82, s82, 0xffffff                               // 000000003320: 8652FF52 00FFFFFF
	v_mul_lo_u32 v7, v4, s82                                   // 000000003328: D2850007 0000A504
	v_add_u32_e32 v74, v6, v7                                  // 000000003330: 68940F06
	v_mul_lo_u32 v74, v74, s68                                 // 000000003334: D285004A 0000894A
	v_readlane_b32 s82, v3, 26                                 // 00000000333C: D2890052 00013503
	s_and_b32 s82, s82, 0xffffff                               // 000000003344: 8652FF52 00FFFFFF
	v_mul_lo_u32 v6, v5, s82                                   // 00000000334C: D2850006 0000A505
	v_readlane_b32 s82, v3, 27                                 // 000000003354: D2890052 00013703
	s_and_b32 s82, s82, 0xffffff                               // 00000000335C: 8652FF52 00FFFFFF
	v_mul_lo_u32 v7, v4, s82                                   // 000000003364: D2850007 0000A504
	v_add_u32_e32 v75, v6, v7                                  // 00000000336C: 68960F06
	v_mul_lo_u32 v75, v75, s68                                 // 000000003370: D285004B 0000894B
	v_readlane_b32 s82, v3, 28                                 // 000000003378: D2890052 00013903
	s_and_b32 s82, s82, 0xffffff                               // 000000003380: 8652FF52 00FFFFFF
	v_mul_lo_u32 v6, v5, s82                                   // 000000003388: D2850006 0000A505
	v_readlane_b32 s82, v3, 29                                 // 000000003390: D2890052 00013B03
	s_and_b32 s82, s82, 0xffffff                               // 000000003398: 8652FF52 00FFFFFF
	v_mul_lo_u32 v7, v4, s82                                   // 0000000033A0: D2850007 0000A504
	v_add_u32_e32 v76, v6, v7                                  // 0000000033A8: 68980F06
	v_mul_lo_u32 v76, v76, s68                                 // 0000000033AC: D285004C 0000894C
	v_readlane_b32 s82, v3, 30                                 // 0000000033B4: D2890052 00013D03
	s_and_b32 s82, s82, 0xffffff                               // 0000000033BC: 8652FF52 00FFFFFF
	v_mul_lo_u32 v6, v5, s82                                   // 0000000033C4: D2850006 0000A505
	v_readlane_b32 s82, v3, 31                                 // 0000000033CC: D2890052 00013F03
	s_and_b32 s82, s82, 0xffffff                               // 0000000033D4: 8652FF52 00FFFFFF
	v_mul_lo_u32 v7, v4, s82                                   // 0000000033DC: D2850007 0000A504
	v_add_u32_e32 v77, v6, v7                                  // 0000000033E4: 689A0F06
	v_mul_lo_u32 v77, v77, s68                                 // 0000000033E8: D285004D 0000894D
	v_and_b32_e32 v4, 31, v0                                   // 0000000033F0: 2608009F
	v_lshlrev_b32_e32 v4, 2, v4                                // 0000000033F4: 24080882
	v_add_u32_e32 v62, v62, v4                                 // 0000000033F8: 687C093E
	v_add_u32_e32 v63, v63, v4                                 // 0000000033FC: 687E093F
	v_add_u32_e32 v64, v64, v4                                 // 000000003400: 68800940
	v_add_u32_e32 v65, v65, v4                                 // 000000003404: 68820941
	;; [unrolled: 1-line block ×3, first 2 shown]
	v_add_u32_e32 v67, v67, v4                                 // 00000000340C: 68860943
	v_add_u32_e32 v68, v68, v4                                 // 000000003410: 68880944
	v_add_u32_e32 v69, v69, v4                                 // 000000003414: 688A0945
	v_add_u32_e32 v70, v70, v4                                 // 000000003418: 688C0946
	v_add_u32_e32 v71, v71, v4                                 // 00000000341C: 688E0947
	v_add_u32_e32 v72, v72, v4                                 // 000000003420: 68900948
	v_add_u32_e32 v73, v73, v4                                 // 000000003424: 68920949
	v_add_u32_e32 v74, v74, v4                                 // 000000003428: 6894094A
	v_add_u32_e32 v75, v75, v4                                 // 00000000342C: 6896094B
	v_add_u32_e32 v76, v76, v4                                 // 000000003430: 6898094C
	v_add_u32_e32 v77, v77, v4                                 // 000000003434: 689A094D
	v_and_b32_e32 v30, 0xffffff, v30                           // 000000003438: 263C3CFF 00FFFFFF
	v_lshlrev_b32_e32 v30, 2, v30                              // 000000003440: 243C3C82
	v_and_b32_e32 v31, 0xffffff, v31                           // 000000003444: 263E3EFF 00FFFFFF
	v_lshlrev_b32_e32 v31, 2, v31                              // 00000000344C: 243E3E82
	v_and_b32_e32 v32, 0xffffff, v32                           // 000000003450: 264040FF 00FFFFFF
	v_lshlrev_b32_e32 v32, 2, v32                              // 000000003458: 24404082
	v_and_b32_e32 v33, 0xffffff, v33                           // 00000000345C: 264242FF 00FFFFFF
	v_lshlrev_b32_e32 v33, 2, v33                              // 000000003464: 24424282
	v_and_b32_e32 v34, 0xffffff, v34                           // 000000003468: 264444FF 00FFFFFF
	v_lshlrev_b32_e32 v34, 2, v34                              // 000000003470: 24444482
	v_and_b32_e32 v35, 0xffffff, v35                           // 000000003474: 264646FF 00FFFFFF
	v_lshlrev_b32_e32 v35, 2, v35                              // 00000000347C: 24464682
	v_and_b32_e32 v36, 0xffffff, v36                           // 000000003480: 264848FF 00FFFFFF
	v_lshlrev_b32_e32 v36, 2, v36                              // 000000003488: 24484882
	v_and_b32_e32 v37, 0xffffff, v37                           // 00000000348C: 264A4AFF 00FFFFFF
	v_lshlrev_b32_e32 v37, 2, v37                              // 000000003494: 244A4A82
	s_lshl_b32 s3, s66, 2                                      // 000000003498: 8E038242
	buffer_load_dword v38, v30, s[28:31], 0 offen              // 00000000349C: E0501000 8007261E
	buffer_load_dword v39, v31, s[28:31], 0 offen              // 0000000034A4: E0501000 8007271F
	buffer_load_dword v40, v32, s[28:31], 0 offen              // 0000000034AC: E0501000 80072820
	buffer_load_dword v41, v33, s[28:31], 0 offen              // 0000000034B4: E0501000 80072921
	buffer_load_dword v42, v34, s[28:31], 0 offen              // 0000000034BC: E0501000 80072A22
	buffer_load_dword v43, v35, s[28:31], 0 offen              // 0000000034C4: E0501000 80072B23
	buffer_load_dword v44, v36, s[28:31], 0 offen              // 0000000034CC: E0501000 80072C24
	buffer_load_dword v45, v37, s[28:31], 0 offen              // 0000000034D4: E0501000 80072D25
	buffer_load_dword v24, v22, s[32:35], 0 offen              // 0000000034DC: E0501000 80081816
	s_mul_i32 s60, 4, s65                                      // 0000000034E4: 923C4184
	s_add_u32 s32, s60, s32                                    // 0000000034E8: 8020203C
	s_addc_u32 s33, 0, s33                                     // 0000000034EC: 82212180
	buffer_load_dword v27, v22, s[32:35], 0 offen              // 0000000034F0: E0501000 80081B16
	buffer_load_dword v62, s[20:23], 0 offen lds               // 0000000034F8: E0511000 8005003E
	s_add_u32 m0, 0x100, s48                                   // 000000003500: 807C30FF 00000100
	buffer_load_dword v63, s[20:23], 0 offen lds               // 000000003508: E0511000 8005003F
	s_add_u32 m0, 0x200, s48                                   // 000000003510: 807C30FF 00000200
	buffer_load_dword v64, s[20:23], 0 offen lds               // 000000003518: E0511000 80050040
	s_add_u32 m0, 0x300, s48                                   // 000000003520: 807C30FF 00000300
	buffer_load_dword v65, s[20:23], 0 offen lds               // 000000003528: E0511000 80050041
	;; [unrolled: 2-line block ×8, first 2 shown]
	s_add_u32 m0, 0xa00, s48                                   // 000000003590: 807C30FF 00000A00
	buffer_load_dword v72, s[20:23], 0 offen lds               // 000000003598: E0511000 80050048
	s_add_u32 m0, 0xb00, s48                                   // 0000000035A0: 807C30FF 00000B00
	buffer_load_dword v73, s[20:23], 0 offen lds               // 0000000035A8: E0511000 80050049
	s_add_u32 m0, 0xc00, s48                                   // 0000000035B0: 807C30FF 00000C00
	buffer_load_dword v74, s[20:23], 0 offen lds               // 0000000035B8: E0511000 8005004A
	s_add_u32 m0, 0xd00, s48                                   // 0000000035C0: 807C30FF 00000D00
	buffer_load_dword v75, s[20:23], 0 offen lds               // 0000000035C8: E0511000 8005004B
	s_add_u32 m0, 0xe00, s48                                   // 0000000035D0: 807C30FF 00000E00
	buffer_load_dword v76, s[20:23], 0 offen lds               // 0000000035D8: E0511000 8005004C
	s_add_u32 m0, 0xf00, s48                                   // 0000000035E0: 807C30FF 00000F00
	buffer_load_dword v77, s[20:23], 0 offen lds               // 0000000035E8: E0511000 8005004D
	s_add_u32 m0, 0, s49                                       // 0000000035F0: 807C3180
	s_add_u32 s20, s57, s20                                    // 0000000035F4: 80141439
	s_addc_u32 s21, 0, s21                                     // 0000000035F8: 82151580
	buffer_load_dwordx4 a[128:131], v78, s[24:27], 0 offen     // 0000000035FC: E05C1000 8086804E
	buffer_load_dwordx4 a[132:135], v78, s[24:27], 0 offen offset:1024// 000000003604: E05C1400 8086844E
	s_add_u32 s24, s58, s24                                    // 00000000360C: 8018183A
	s_addc_u32 s25, 0, s25                                     // 000000003610: 82191980
	buffer_load_dword v62, s[20:23], 0 offen lds               // 000000003614: E0511000 8005003E
	s_add_u32 m0, 0x100, s49                                   // 00000000361C: 807C31FF 00000100
	buffer_load_dword v63, s[20:23], 0 offen lds               // 000000003624: E0511000 8005003F
	s_add_u32 m0, 0x200, s49                                   // 00000000362C: 807C31FF 00000200
	buffer_load_dword v64, s[20:23], 0 offen lds               // 000000003634: E0511000 80050040
	s_add_u32 m0, 0x300, s49                                   // 00000000363C: 807C31FF 00000300
	buffer_load_dword v65, s[20:23], 0 offen lds               // 000000003644: E0511000 80050041
	s_add_u32 m0, 0x400, s49                                   // 00000000364C: 807C31FF 00000400
	buffer_load_dword v66, s[20:23], 0 offen lds               // 000000003654: E0511000 80050042
	s_add_u32 m0, 0x500, s49                                   // 00000000365C: 807C31FF 00000500
	buffer_load_dword v67, s[20:23], 0 offen lds               // 000000003664: E0511000 80050043
	s_add_u32 m0, 0x600, s49                                   // 00000000366C: 807C31FF 00000600
	buffer_load_dword v68, s[20:23], 0 offen lds               // 000000003674: E0511000 80050044
	s_add_u32 m0, 0x700, s49                                   // 00000000367C: 807C31FF 00000700
	buffer_load_dword v69, s[20:23], 0 offen lds               // 000000003684: E0511000 80050045
	s_add_u32 m0, 0x800, s49                                   // 00000000368C: 807C31FF 00000800
	buffer_load_dword v70, s[20:23], 0 offen lds               // 000000003694: E0511000 80050046
	s_add_u32 m0, 0x900, s49                                   // 00000000369C: 807C31FF 00000900
	buffer_load_dword v71, s[20:23], 0 offen lds               // 0000000036A4: E0511000 80050047
	s_add_u32 m0, 0xa00, s49                                   // 0000000036AC: 807C31FF 00000A00
	buffer_load_dword v72, s[20:23], 0 offen lds               // 0000000036B4: E0511000 80050048
	s_add_u32 m0, 0xb00, s49                                   // 0000000036BC: 807C31FF 00000B00
	buffer_load_dword v73, s[20:23], 0 offen lds               // 0000000036C4: E0511000 80050049
	s_add_u32 m0, 0xc00, s49                                   // 0000000036CC: 807C31FF 00000C00
	buffer_load_dword v74, s[20:23], 0 offen lds               // 0000000036D4: E0511000 8005004A
	s_add_u32 m0, 0xd00, s49                                   // 0000000036DC: 807C31FF 00000D00
	buffer_load_dword v75, s[20:23], 0 offen lds               // 0000000036E4: E0511000 8005004B
	s_add_u32 m0, 0xe00, s49                                   // 0000000036EC: 807C31FF 00000E00
	buffer_load_dword v76, s[20:23], 0 offen lds               // 0000000036F4: E0511000 8005004C
	s_add_u32 m0, 0xf00, s49                                   // 0000000036FC: 807C31FF 00000F00
	buffer_load_dword v77, s[20:23], 0 offen lds               // 000000003704: E0511000 8005004D
	s_add_u32 m0, 0, s50                                       // 00000000370C: 807C3280
	s_add_u32 s20, s57, s20                                    // 000000003710: 80141439
	s_addc_u32 s21, 0, s21                                     // 000000003714: 82151580
	buffer_load_dwordx4 a[136:139], v78, s[84:87], 0 offen     // 000000003718: E05C1000 8095884E
	buffer_load_dwordx4 a[140:143], v78, s[84:87], 0 offen offset:1024// 000000003720: E05C1400 80958C4E
	s_add_u32 s84, s83, s84                                    // 000000003728: 80545453
	s_addc_u32 s85, 0, s85                                     // 00000000372C: 82555580
	s_waitcnt vmcnt(20)                                        // 000000003730: BF8C4F74
	s_barrier                                                  // 000000003734: BF8A0000
	ds_read_b128 a[0:3], v2                                    // 000000003738: DBFE0000 00000002
	ds_read_b128 a[4:7], v2 offset:64                          // 000000003740: DBFE0040 04000002
	ds_read_b128 a[8:11], v2 offset:512                        // 000000003748: DBFE0200 08000002
	ds_read_b128 a[12:15], v2 offset:576                       // 000000003750: DBFE0240 0C000002
	ds_read_b128 a[16:19], v2 offset:1024                      // 000000003758: DBFE0400 10000002
	ds_read_b128 a[20:23], v2 offset:1088                      // 000000003760: DBFE0440 14000002
	ds_read_b128 a[24:27], v2 offset:1536                      // 000000003768: DBFE0600 18000002
	ds_read_b128 a[28:31], v2 offset:1600                      // 000000003770: DBFE0640 1C000002
	ds_read_b128 a[32:35], v2 offset:2048                      // 000000003778: DBFE0800 20000002
	ds_read_b128 a[36:39], v2 offset:2112                      // 000000003780: DBFE0840 24000002
	ds_read_b128 a[40:43], v2 offset:2560                      // 000000003788: DBFE0A00 28000002
	ds_read_b128 a[44:47], v2 offset:2624                      // 000000003790: DBFE0A40 2C000002
	ds_read_b128 a[48:51], v2 offset:3072                      // 000000003798: DBFE0C00 30000002
	ds_read_b128 a[52:55], v2 offset:3136                      // 0000000037A0: DBFE0C40 34000002
	ds_read_b128 a[56:59], v2 offset:3584                      // 0000000037A8: DBFE0E00 38000002
	ds_read_b128 a[60:63], v2 offset:3648                      // 0000000037B0: DBFE0E40 3C000002
	s_cmp_lt_i32 s7, 2                                         // 0000000037B8: BF048207
	s_cbranch_scc0 label_1703                                  // 0000000037BC: BF841390

00000000000037c0 <label_0370>:
	s_waitcnt vmcnt(18) lgkmcnt(0)                             // 0000000037C0: BF8C4072
	v_mfma_f32_16x16x32_fp8_fp8 v[80:83], a[128:129], a[0:1], v[80:83]// 0000000037C4: D3F30050 1D420180
	v_mfma_f32_16x16x32_fp8_fp8 v[80:83], a[130:131], a[2:3], v[80:83]// 0000000037CC: D3F30050 1D420582
	buffer_load_dwordx4 a[144:147], v78, s[24:27], 0 offen     // 0000000037D4: E05C1000 8086904E
	v_mfma_f32_16x16x32_fp8_fp8 v[80:83], a[132:133], a[4:5], v[80:83]// 0000000037DC: D3F30050 1D420984
	v_mfma_f32_16x16x32_fp8_fp8 v[80:83], a[134:135], a[6:7], v[80:83]// 0000000037E4: D3F30050 1D420D86
	v_mfma_f32_16x16x32_fp8_fp8 v[84:87], a[128:129], a[8:9], v[84:87]// 0000000037EC: D3F30054 1D521180
	v_mfma_f32_16x16x32_fp8_fp8 v[84:87], a[130:131], a[10:11], v[84:87]// 0000000037F4: D3F30054 1D521582
	buffer_load_dwordx4 a[148:151], v78, s[24:27], 0 offen offset:1024// 0000000037FC: E05C1400 8086944E
	buffer_load_dword v62, s[20:23], 0 offen lds               // 000000003804: E0511000 8005003E
	s_add_u32 m0, 0x100, s50                                   // 00000000380C: 807C32FF 00000100
	v_mfma_f32_16x16x32_fp8_fp8 v[84:87], a[132:133], a[12:13], v[84:87]// 000000003814: D3F30054 1D521984
	v_mfma_f32_16x16x32_fp8_fp8 v[84:87], a[134:135], a[14:15], v[84:87]// 00000000381C: D3F30054 1D521D86
	buffer_load_dword v63, s[20:23], 0 offen lds               // 000000003824: E0511000 8005003F
	s_add_u32 m0, 0x200, s50                                   // 00000000382C: 807C32FF 00000200
	v_mfma_f32_16x16x32_fp8_fp8 v[88:91], a[128:129], a[16:17], v[88:91]// 000000003834: D3F30058 1D622180
	v_mfma_f32_16x16x32_fp8_fp8 v[88:91], a[130:131], a[18:19], v[88:91]// 00000000383C: D3F30058 1D622582
	buffer_load_dword v64, s[20:23], 0 offen lds               // 000000003844: E0511000 80050040
	s_add_u32 m0, 0x300, s50                                   // 00000000384C: 807C32FF 00000300
	v_mfma_f32_16x16x32_fp8_fp8 v[88:91], a[132:133], a[20:21], v[88:91]// 000000003854: D3F30058 1D622984
	v_mfma_f32_16x16x32_fp8_fp8 v[88:91], a[134:135], a[22:23], v[88:91]// 00000000385C: D3F30058 1D622D86
	buffer_load_dword v65, s[20:23], 0 offen lds               // 000000003864: E0511000 80050041
	s_add_u32 m0, 0x400, s50                                   // 00000000386C: 807C32FF 00000400
	v_mfma_f32_16x16x32_fp8_fp8 v[92:95], a[128:129], a[24:25], v[92:95]// 000000003874: D3F3005C 1D723180
	v_mfma_f32_16x16x32_fp8_fp8 v[92:95], a[130:131], a[26:27], v[92:95]// 00000000387C: D3F3005C 1D723582
	buffer_load_dword v66, s[20:23], 0 offen lds               // 000000003884: E0511000 80050042
	s_add_u32 m0, 0x500, s50                                   // 00000000388C: 807C32FF 00000500
	v_mfma_f32_16x16x32_fp8_fp8 v[92:95], a[132:133], a[28:29], v[92:95]// 000000003894: D3F3005C 1D723984
	v_mfma_f32_16x16x32_fp8_fp8 v[92:95], a[134:135], a[30:31], v[92:95]// 00000000389C: D3F3005C 1D723D86
	buffer_load_dword v67, s[20:23], 0 offen lds               // 0000000038A4: E0511000 80050043
	s_add_u32 m0, 0x600, s50                                   // 0000000038AC: 807C32FF 00000600
	v_mfma_f32_16x16x32_fp8_fp8 v[96:99], a[128:129], a[32:33], v[96:99]// 0000000038B4: D3F30060 1D824180
	v_mfma_f32_16x16x32_fp8_fp8 v[96:99], a[130:131], a[34:35], v[96:99]// 0000000038BC: D3F30060 1D824582
	v_mfma_f32_16x16x32_fp8_fp8 v[96:99], a[132:133], a[36:37], v[96:99]// 0000000038C4: D3F30060 1D824984
	v_mfma_f32_16x16x32_fp8_fp8 v[96:99], a[134:135], a[38:39], v[96:99]// 0000000038CC: D3F30060 1D824D86
	v_mfma_f32_16x16x32_fp8_fp8 v[100:103], a[128:129], a[40:41], v[100:103]// 0000000038D4: D3F30064 1D925180
	v_mfma_f32_16x16x32_fp8_fp8 v[100:103], a[130:131], a[42:43], v[100:103]// 0000000038DC: D3F30064 1D925582
	buffer_load_dword v68, s[20:23], 0 offen lds               // 0000000038E4: E0511000 80050044
	s_add_u32 m0, 0x700, s50                                   // 0000000038EC: 807C32FF 00000700
	v_mfma_f32_16x16x32_fp8_fp8 v[100:103], a[132:133], a[44:45], v[100:103]// 0000000038F4: D3F30064 1D925984
	v_mfma_f32_16x16x32_fp8_fp8 v[100:103], a[134:135], a[46:47], v[100:103]// 0000000038FC: D3F30064 1D925D86
	buffer_load_dword v69, s[20:23], 0 offen lds               // 000000003904: E0511000 80050045
	s_add_u32 m0, 0x800, s50                                   // 00000000390C: 807C32FF 00000800
	v_mfma_f32_16x16x32_fp8_fp8 v[104:107], a[128:129], a[48:49], v[104:107]// 000000003914: D3F30068 1DA26180
	v_mfma_f32_16x16x32_fp8_fp8 v[104:107], a[130:131], a[50:51], v[104:107]// 00000000391C: D3F30068 1DA26582
	v_mfma_f32_16x16x32_fp8_fp8 v[104:107], a[132:133], a[52:53], v[104:107]// 000000003924: D3F30068 1DA26984
	v_mfma_f32_16x16x32_fp8_fp8 v[104:107], a[134:135], a[54:55], v[104:107]// 00000000392C: D3F30068 1DA26D86
	v_mfma_f32_16x16x32_fp8_fp8 v[108:111], a[128:129], a[56:57], v[108:111]// 000000003934: D3F3006C 1DB27180
	v_mfma_f32_16x16x32_fp8_fp8 v[108:111], a[130:131], a[58:59], v[108:111]// 00000000393C: D3F3006C 1DB27582
	buffer_load_dword v70, s[20:23], 0 offen lds               // 000000003944: E0511000 80050046
	s_add_u32 m0, 0x900, s50                                   // 00000000394C: 807C32FF 00000900
	v_mfma_f32_16x16x32_fp8_fp8 v[108:111], a[132:133], a[60:61], v[108:111]// 000000003954: D3F3006C 1DB27984
	v_mfma_f32_16x16x32_fp8_fp8 v[108:111], a[134:135], a[62:63], v[108:111]// 00000000395C: D3F3006C 1DB27D86
	buffer_load_dword v71, s[20:23], 0 offen lds               // 000000003964: E0511000 80050047
	s_add_u32 m0, 0xa00, s50                                   // 00000000396C: 807C32FF 00000A00
	buffer_load_dword v72, s[20:23], 0 offen lds               // 000000003974: E0511000 80050048
	s_add_u32 m0, 0xb00, s50                                   // 00000000397C: 807C32FF 00000B00
	buffer_load_dword v73, s[20:23], 0 offen lds               // 000000003984: E0511000 80050049
	s_add_u32 m0, 0xc00, s50                                   // 00000000398C: 807C32FF 00000C00
	buffer_load_dword v74, s[20:23], 0 offen lds               // 000000003994: E0511000 8005004A
	s_add_u32 m0, 0xd00, s50                                   // 00000000399C: 807C32FF 00000D00
	buffer_load_dword v75, s[20:23], 0 offen lds               // 0000000039A4: E0511000 8005004B
	s_add_u32 m0, 0xe00, s50                                   // 0000000039AC: 807C32FF 00000E00
	buffer_load_dword v76, s[20:23], 0 offen lds               // 0000000039B4: E0511000 8005004C
	s_add_u32 m0, 0xf00, s50                                   // 0000000039BC: 807C32FF 00000F00
	buffer_load_dword v77, s[20:23], 0 offen lds               // 0000000039C4: E0511000 8005004D
	s_add_u32 m0, 0, s48                                       // 0000000039CC: 807C3080
	s_waitcnt vmcnt(18)                                        // 0000000039D0: BF8C4F72
	s_barrier                                                  // 0000000039D4: BF8A0000
	v_mfma_f32_16x16x32_fp8_fp8 v[112:115], a[136:137], a[0:1], v[112:115]// 0000000039D8: D3F30070 1DC20188
	v_mfma_f32_16x16x32_fp8_fp8 v[112:115], a[138:139], a[2:3], v[112:115]// 0000000039E0: D3F30070 1DC2058A
	buffer_load_dwordx4 a[128:131], v78, s[84:87], 0 offen     // 0000000039E8: E05C1000 8095804E
	v_mfma_f32_16x16x32_fp8_fp8 v[112:115], a[140:141], a[4:5], v[112:115]// 0000000039F0: D3F30070 1DC2098C
	v_mfma_f32_16x16x32_fp8_fp8 v[112:115], a[142:143], a[6:7], v[112:115]// 0000000039F8: D3F30070 1DC20D8E
	ds_read_b128 a[64:67], v2 offset:16512                     // 000000003A00: DBFE4080 40000002
	ds_read_b128 a[68:71], v2 offset:16576                     // 000000003A08: DBFE40C0 44000002
	v_mfma_f32_16x16x32_fp8_fp8 v[116:119], a[136:137], a[8:9], v[116:119]// 000000003A10: D3F30074 1DD21188
	v_mfma_f32_16x16x32_fp8_fp8 v[116:119], a[138:139], a[10:11], v[116:119]// 000000003A18: D3F30074 1DD2158A
	buffer_load_dwordx4 a[132:135], v78, s[84:87], 0 offen offset:1024// 000000003A20: E05C1400 8095844E
	v_mfma_f32_16x16x32_fp8_fp8 v[116:119], a[140:141], a[12:13], v[116:119]// 000000003A28: D3F30074 1DD2198C
	v_mfma_f32_16x16x32_fp8_fp8 v[116:119], a[142:143], a[14:15], v[116:119]// 000000003A30: D3F30074 1DD21D8E
	ds_read_b128 a[72:75], v2 offset:17024                     // 000000003A38: DBFE4280 48000002
	ds_read_b128 a[76:79], v2 offset:17088                     // 000000003A40: DBFE42C0 4C000002
	v_mfma_f32_16x16x32_fp8_fp8 v[120:123], a[136:137], a[16:17], v[120:123]// 000000003A48: D3F30078 1DE22188
	v_mfma_f32_16x16x32_fp8_fp8 v[120:123], a[138:139], a[18:19], v[120:123]// 000000003A50: D3F30078 1DE2258A
	v_mfma_f32_16x16x32_fp8_fp8 v[120:123], a[140:141], a[20:21], v[120:123]// 000000003A58: D3F30078 1DE2298C
	v_mfma_f32_16x16x32_fp8_fp8 v[120:123], a[142:143], a[22:23], v[120:123]// 000000003A60: D3F30078 1DE22D8E
	ds_read_b128 a[80:83], v2 offset:17536                     // 000000003A68: DBFE4480 50000002
	ds_read_b128 a[84:87], v2 offset:17600                     // 000000003A70: DBFE44C0 54000002
	v_mfma_f32_16x16x32_fp8_fp8 v[124:127], a[136:137], a[24:25], v[124:127]// 000000003A78: D3F3007C 1DF23188
	v_mfma_f32_16x16x32_fp8_fp8 v[124:127], a[138:139], a[26:27], v[124:127]// 000000003A80: D3F3007C 1DF2358A
	v_mfma_f32_16x16x32_fp8_fp8 v[124:127], a[140:141], a[28:29], v[124:127]// 000000003A88: D3F3007C 1DF2398C
	v_mfma_f32_16x16x32_fp8_fp8 v[124:127], a[142:143], a[30:31], v[124:127]// 000000003A90: D3F3007C 1DF23D8E
	ds_read_b128 a[88:91], v2 offset:18048                     // 000000003A98: DBFE4680 58000002
	ds_read_b128 a[92:95], v2 offset:18112                     // 000000003AA0: DBFE46C0 5C000002
	v_mfma_f32_16x16x32_fp8_fp8 v[128:131], a[136:137], a[32:33], v[128:131]// 000000003AA8: D3F30080 1E024188
	v_mfma_f32_16x16x32_fp8_fp8 v[128:131], a[138:139], a[34:35], v[128:131]// 000000003AB0: D3F30080 1E02458A
	v_mfma_f32_16x16x32_fp8_fp8 v[128:131], a[140:141], a[36:37], v[128:131]// 000000003AB8: D3F30080 1E02498C
	v_mfma_f32_16x16x32_fp8_fp8 v[128:131], a[142:143], a[38:39], v[128:131]// 000000003AC0: D3F30080 1E024D8E
	ds_read_b128 a[96:99], v2 offset:18560                     // 000000003AC8: DBFE4880 60000002
	ds_read_b128 a[100:103], v2 offset:18624                   // 000000003AD0: DBFE48C0 64000002
	v_mfma_f32_16x16x32_fp8_fp8 v[132:135], a[136:137], a[40:41], v[132:135]// 000000003AD8: D3F30084 1E125188
	v_mfma_f32_16x16x32_fp8_fp8 v[132:135], a[138:139], a[42:43], v[132:135]// 000000003AE0: D3F30084 1E12558A
	v_mfma_f32_16x16x32_fp8_fp8 v[132:135], a[140:141], a[44:45], v[132:135]// 000000003AE8: D3F30084 1E12598C
	v_mfma_f32_16x16x32_fp8_fp8 v[132:135], a[142:143], a[46:47], v[132:135]// 000000003AF0: D3F30084 1E125D8E
	ds_read_b128 a[104:107], v2 offset:19072                   // 000000003AF8: DBFE4A80 68000002
	ds_read_b128 a[108:111], v2 offset:19136                   // 000000003B00: DBFE4AC0 6C000002
	v_mfma_f32_16x16x32_fp8_fp8 v[136:139], a[136:137], a[48:49], v[136:139]// 000000003B08: D3F30088 1E226188
	s_add_u32 s60, 0x180, s80                                  // 000000003B10: 803C50FF 00000180
	s_cmp_lt_u32 s60, s81                                      // 000000003B18: BF0A513C
	s_cselect_b32 s57, s57, 0                                  // 000000003B1C: 85398039
	v_mfma_f32_16x16x32_fp8_fp8 v[136:139], a[138:139], a[50:51], v[136:139]// 000000003B20: D3F30088 1E22658A
	s_add_u32 s60, 0x100, s80                                  // 000000003B28: 803C50FF 00000100
	s_cmp_lt_u32 s60, s81                                      // 000000003B30: BF0A513C
	s_cselect_b32 s58, s58, 0                                  // 000000003B34: 853A803A
	v_mfma_f32_16x16x32_fp8_fp8 v[136:139], a[140:141], a[52:53], v[136:139]// 000000003B38: D3F30088 1E22698C
	s_add_u32 s60, 0x100, s80                                  // 000000003B40: 803C50FF 00000100
	s_cmp_lt_u32 s60, s81                                      // 000000003B48: BF0A513C
	s_cselect_b32 s83, s83, 0                                  // 000000003B4C: 85538053
	v_mfma_f32_16x16x32_fp8_fp8 v[136:139], a[142:143], a[54:55], v[136:139]// 000000003B50: D3F30088 1E226D8E
	ds_read_b128 a[112:115], v2 offset:19584                   // 000000003B58: DBFE4C80 70000002
	ds_read_b128 a[116:119], v2 offset:19648                   // 000000003B60: DBFE4CC0 74000002
	s_add_u32 s24, s58, s24                                    // 000000003B68: 8018183A
	s_addc_u32 s25, 0, s25                                     // 000000003B6C: 82191980
	v_mfma_f32_16x16x32_fp8_fp8 v[140:143], a[136:137], a[56:57], v[140:143]// 000000003B70: D3F3008C 1E327188
	s_add_u32 s20, s57, s20                                    // 000000003B78: 80141439
	s_addc_u32 s21, 0, s21                                     // 000000003B7C: 82151580
	v_mfma_f32_16x16x32_fp8_fp8 v[140:143], a[138:139], a[58:59], v[140:143]// 000000003B80: D3F3008C 1E32758A
	s_add_u32 s84, s83, s84                                    // 000000003B88: 80545453
	s_addc_u32 s85, 0, s85                                     // 000000003B8C: 82555580
	v_mfma_f32_16x16x32_fp8_fp8 v[140:143], a[140:141], a[60:61], v[140:143]// 000000003B90: D3F3008C 1E32798C
	v_mfma_f32_16x16x32_fp8_fp8 v[140:143], a[142:143], a[62:63], v[140:143]// 000000003B98: D3F3008C 1E327D8E
	ds_read_b128 a[120:123], v2 offset:20096                   // 000000003BA0: DBFE4E80 78000002
	ds_read_b128 a[124:127], v2 offset:20160                   // 000000003BA8: DBFE4EC0 7C000002
	s_addk_i32 s80, 0x80                                       // 000000003BB0: B7500080
	s_cmp_lt_i32 s80, s81                                      // 000000003BB4: BF045150
	s_cbranch_scc0 label_096B                                  // 000000003BB8: BF8404FC
	s_waitcnt vmcnt(18) lgkmcnt(0)                             // 000000003BBC: BF8C4072
	v_mfma_f32_16x16x32_fp8_fp8 v[80:83], a[144:145], a[64:65], v[80:83]// 000000003BC0: D3F30050 1D428190
	v_mfma_f32_16x16x32_fp8_fp8 v[80:83], a[146:147], a[66:67], v[80:83]// 000000003BC8: D3F30050 1D428592
	buffer_load_dwordx4 a[136:139], v78, s[24:27], 0 offen     // 000000003BD0: E05C1000 8086884E
	v_mfma_f32_16x16x32_fp8_fp8 v[80:83], a[148:149], a[68:69], v[80:83]// 000000003BD8: D3F30050 1D428994
	v_mfma_f32_16x16x32_fp8_fp8 v[80:83], a[150:151], a[70:71], v[80:83]// 000000003BE0: D3F30050 1D428D96
	v_mfma_f32_16x16x32_fp8_fp8 v[84:87], a[144:145], a[72:73], v[84:87]// 000000003BE8: D3F30054 1D529190
	v_mfma_f32_16x16x32_fp8_fp8 v[84:87], a[146:147], a[74:75], v[84:87]// 000000003BF0: D3F30054 1D529592
	buffer_load_dwordx4 a[140:143], v78, s[24:27], 0 offen offset:1024// 000000003BF8: E05C1400 80868C4E
	buffer_load_dword v62, s[20:23], 0 offen lds               // 000000003C00: E0511000 8005003E
	s_add_u32 m0, 0x100, s48                                   // 000000003C08: 807C30FF 00000100
	v_mfma_f32_16x16x32_fp8_fp8 v[84:87], a[148:149], a[76:77], v[84:87]// 000000003C10: D3F30054 1D529994
	v_mfma_f32_16x16x32_fp8_fp8 v[84:87], a[150:151], a[78:79], v[84:87]// 000000003C18: D3F30054 1D529D96
	buffer_load_dword v63, s[20:23], 0 offen lds               // 000000003C20: E0511000 8005003F
	s_add_u32 m0, 0x200, s48                                   // 000000003C28: 807C30FF 00000200
	v_mfma_f32_16x16x32_fp8_fp8 v[88:91], a[144:145], a[80:81], v[88:91]// 000000003C30: D3F30058 1D62A190
	v_mfma_f32_16x16x32_fp8_fp8 v[88:91], a[146:147], a[82:83], v[88:91]// 000000003C38: D3F30058 1D62A592
	buffer_load_dword v64, s[20:23], 0 offen lds               // 000000003C40: E0511000 80050040
	s_add_u32 m0, 0x300, s48                                   // 000000003C48: 807C30FF 00000300
	v_mfma_f32_16x16x32_fp8_fp8 v[88:91], a[148:149], a[84:85], v[88:91]// 000000003C50: D3F30058 1D62A994
	v_mfma_f32_16x16x32_fp8_fp8 v[88:91], a[150:151], a[86:87], v[88:91]// 000000003C58: D3F30058 1D62AD96
	buffer_load_dword v65, s[20:23], 0 offen lds               // 000000003C60: E0511000 80050041
	s_add_u32 m0, 0x400, s48                                   // 000000003C68: 807C30FF 00000400
	v_mfma_f32_16x16x32_fp8_fp8 v[92:95], a[144:145], a[88:89], v[92:95]// 000000003C70: D3F3005C 1D72B190
	v_mfma_f32_16x16x32_fp8_fp8 v[92:95], a[146:147], a[90:91], v[92:95]// 000000003C78: D3F3005C 1D72B592
	buffer_load_dword v66, s[20:23], 0 offen lds               // 000000003C80: E0511000 80050042
	s_add_u32 m0, 0x500, s48                                   // 000000003C88: 807C30FF 00000500
	v_mfma_f32_16x16x32_fp8_fp8 v[92:95], a[148:149], a[92:93], v[92:95]// 000000003C90: D3F3005C 1D72B994
	v_mfma_f32_16x16x32_fp8_fp8 v[92:95], a[150:151], a[94:95], v[92:95]// 000000003C98: D3F3005C 1D72BD96
	buffer_load_dword v67, s[20:23], 0 offen lds               // 000000003CA0: E0511000 80050043
	s_add_u32 m0, 0x600, s48                                   // 000000003CA8: 807C30FF 00000600
	v_mfma_f32_16x16x32_fp8_fp8 v[96:99], a[144:145], a[96:97], v[96:99]// 000000003CB0: D3F30060 1D82C190
	v_mfma_f32_16x16x32_fp8_fp8 v[96:99], a[146:147], a[98:99], v[96:99]// 000000003CB8: D3F30060 1D82C592
	v_mfma_f32_16x16x32_fp8_fp8 v[96:99], a[148:149], a[100:101], v[96:99]// 000000003CC0: D3F30060 1D82C994
	v_mfma_f32_16x16x32_fp8_fp8 v[96:99], a[150:151], a[102:103], v[96:99]// 000000003CC8: D3F30060 1D82CD96
	v_mfma_f32_16x16x32_fp8_fp8 v[100:103], a[144:145], a[104:105], v[100:103]// 000000003CD0: D3F30064 1D92D190
	v_mfma_f32_16x16x32_fp8_fp8 v[100:103], a[146:147], a[106:107], v[100:103]// 000000003CD8: D3F30064 1D92D592
	buffer_load_dword v68, s[20:23], 0 offen lds               // 000000003CE0: E0511000 80050044
	s_add_u32 m0, 0x700, s48                                   // 000000003CE8: 807C30FF 00000700
	v_mfma_f32_16x16x32_fp8_fp8 v[100:103], a[148:149], a[108:109], v[100:103]// 000000003CF0: D3F30064 1D92D994
	v_mfma_f32_16x16x32_fp8_fp8 v[100:103], a[150:151], a[110:111], v[100:103]// 000000003CF8: D3F30064 1D92DD96
	buffer_load_dword v69, s[20:23], 0 offen lds               // 000000003D00: E0511000 80050045
	s_add_u32 m0, 0x800, s48                                   // 000000003D08: 807C30FF 00000800
	v_mfma_f32_16x16x32_fp8_fp8 v[104:107], a[144:145], a[112:113], v[104:107]// 000000003D10: D3F30068 1DA2E190
	v_mfma_f32_16x16x32_fp8_fp8 v[104:107], a[146:147], a[114:115], v[104:107]// 000000003D18: D3F30068 1DA2E592
	v_mfma_f32_16x16x32_fp8_fp8 v[104:107], a[148:149], a[116:117], v[104:107]// 000000003D20: D3F30068 1DA2E994
	v_mfma_f32_16x16x32_fp8_fp8 v[104:107], a[150:151], a[118:119], v[104:107]// 000000003D28: D3F30068 1DA2ED96
	v_mfma_f32_16x16x32_fp8_fp8 v[108:111], a[144:145], a[120:121], v[108:111]// 000000003D30: D3F3006C 1DB2F190
	v_mfma_f32_16x16x32_fp8_fp8 v[108:111], a[146:147], a[122:123], v[108:111]// 000000003D38: D3F3006C 1DB2F592
	buffer_load_dword v70, s[20:23], 0 offen lds               // 000000003D40: E0511000 80050046
	s_add_u32 m0, 0x900, s48                                   // 000000003D48: 807C30FF 00000900
	v_mfma_f32_16x16x32_fp8_fp8 v[108:111], a[148:149], a[124:125], v[108:111]// 000000003D50: D3F3006C 1DB2F994
	v_mfma_f32_16x16x32_fp8_fp8 v[108:111], a[150:151], a[126:127], v[108:111]// 000000003D58: D3F3006C 1DB2FD96
	buffer_load_dword v71, s[20:23], 0 offen lds               // 000000003D60: E0511000 80050047
	s_add_u32 m0, 0xa00, s48                                   // 000000003D68: 807C30FF 00000A00
	buffer_load_dword v72, s[20:23], 0 offen lds               // 000000003D70: E0511000 80050048
	s_add_u32 m0, 0xb00, s48                                   // 000000003D78: 807C30FF 00000B00
	buffer_load_dword v73, s[20:23], 0 offen lds               // 000000003D80: E0511000 80050049
	s_add_u32 m0, 0xc00, s48                                   // 000000003D88: 807C30FF 00000C00
	buffer_load_dword v74, s[20:23], 0 offen lds               // 000000003D90: E0511000 8005004A
	s_add_u32 m0, 0xd00, s48                                   // 000000003D98: 807C30FF 00000D00
	buffer_load_dword v75, s[20:23], 0 offen lds               // 000000003DA0: E0511000 8005004B
	s_add_u32 m0, 0xe00, s48                                   // 000000003DA8: 807C30FF 00000E00
	buffer_load_dword v76, s[20:23], 0 offen lds               // 000000003DB0: E0511000 8005004C
	s_add_u32 m0, 0xf00, s48                                   // 000000003DB8: 807C30FF 00000F00
	buffer_load_dword v77, s[20:23], 0 offen lds               // 000000003DC0: E0511000 8005004D
	s_add_u32 m0, 0, s49                                       // 000000003DC8: 807C3180
	s_waitcnt vmcnt(18)                                        // 000000003DCC: BF8C4F72
	s_barrier                                                  // 000000003DD0: BF8A0000
	v_mfma_f32_16x16x32_fp8_fp8 v[112:115], a[128:129], a[64:65], v[112:115]// 000000003DD4: D3F30070 1DC28180
	v_mfma_f32_16x16x32_fp8_fp8 v[112:115], a[130:131], a[66:67], v[112:115]// 000000003DDC: D3F30070 1DC28582
	buffer_load_dwordx4 a[144:147], v78, s[84:87], 0 offen     // 000000003DE4: E05C1000 8095904E
	v_mfma_f32_16x16x32_fp8_fp8 v[112:115], a[132:133], a[68:69], v[112:115]// 000000003DEC: D3F30070 1DC28984
	v_mfma_f32_16x16x32_fp8_fp8 v[112:115], a[134:135], a[70:71], v[112:115]// 000000003DF4: D3F30070 1DC28D86
	ds_read_b128 a[0:3], v2 offset:33024                       // 000000003DFC: DBFE8100 00000002
	ds_read_b128 a[4:7], v2 offset:33088                       // 000000003E04: DBFE8140 04000002
	v_mfma_f32_16x16x32_fp8_fp8 v[116:119], a[128:129], a[72:73], v[116:119]// 000000003E0C: D3F30074 1DD29180
	v_mfma_f32_16x16x32_fp8_fp8 v[116:119], a[130:131], a[74:75], v[116:119]// 000000003E14: D3F30074 1DD29582
	buffer_load_dwordx4 a[148:151], v78, s[84:87], 0 offen offset:1024// 000000003E1C: E05C1400 8095944E
	v_mfma_f32_16x16x32_fp8_fp8 v[116:119], a[132:133], a[76:77], v[116:119]// 000000003E24: D3F30074 1DD29984
	v_mfma_f32_16x16x32_fp8_fp8 v[116:119], a[134:135], a[78:79], v[116:119]// 000000003E2C: D3F30074 1DD29D86
	ds_read_b128 a[8:11], v2 offset:33536                      // 000000003E34: DBFE8300 08000002
	ds_read_b128 a[12:15], v2 offset:33600                     // 000000003E3C: DBFE8340 0C000002
	v_mfma_f32_16x16x32_fp8_fp8 v[120:123], a[128:129], a[80:81], v[120:123]// 000000003E44: D3F30078 1DE2A180
	v_mfma_f32_16x16x32_fp8_fp8 v[120:123], a[130:131], a[82:83], v[120:123]// 000000003E4C: D3F30078 1DE2A582
	v_mfma_f32_16x16x32_fp8_fp8 v[120:123], a[132:133], a[84:85], v[120:123]// 000000003E54: D3F30078 1DE2A984
	v_mfma_f32_16x16x32_fp8_fp8 v[120:123], a[134:135], a[86:87], v[120:123]// 000000003E5C: D3F30078 1DE2AD86
	ds_read_b128 a[16:19], v2 offset:34048                     // 000000003E64: DBFE8500 10000002
	ds_read_b128 a[20:23], v2 offset:34112                     // 000000003E6C: DBFE8540 14000002
	v_mfma_f32_16x16x32_fp8_fp8 v[124:127], a[128:129], a[88:89], v[124:127]// 000000003E74: D3F3007C 1DF2B180
	v_mfma_f32_16x16x32_fp8_fp8 v[124:127], a[130:131], a[90:91], v[124:127]// 000000003E7C: D3F3007C 1DF2B582
	v_mfma_f32_16x16x32_fp8_fp8 v[124:127], a[132:133], a[92:93], v[124:127]// 000000003E84: D3F3007C 1DF2B984
	v_mfma_f32_16x16x32_fp8_fp8 v[124:127], a[134:135], a[94:95], v[124:127]// 000000003E8C: D3F3007C 1DF2BD86
	ds_read_b128 a[24:27], v2 offset:34560                     // 000000003E94: DBFE8700 18000002
	ds_read_b128 a[28:31], v2 offset:34624                     // 000000003E9C: DBFE8740 1C000002
	v_mfma_f32_16x16x32_fp8_fp8 v[128:131], a[128:129], a[96:97], v[128:131]// 000000003EA4: D3F30080 1E02C180
	v_mfma_f32_16x16x32_fp8_fp8 v[128:131], a[130:131], a[98:99], v[128:131]// 000000003EAC: D3F30080 1E02C582
	v_mfma_f32_16x16x32_fp8_fp8 v[128:131], a[132:133], a[100:101], v[128:131]// 000000003EB4: D3F30080 1E02C984
	v_mfma_f32_16x16x32_fp8_fp8 v[128:131], a[134:135], a[102:103], v[128:131]// 000000003EBC: D3F30080 1E02CD86
	ds_read_b128 a[32:35], v2 offset:35072                     // 000000003EC4: DBFE8900 20000002
	ds_read_b128 a[36:39], v2 offset:35136                     // 000000003ECC: DBFE8940 24000002
	v_mfma_f32_16x16x32_fp8_fp8 v[132:135], a[128:129], a[104:105], v[132:135]// 000000003ED4: D3F30084 1E12D180
	v_mfma_f32_16x16x32_fp8_fp8 v[132:135], a[130:131], a[106:107], v[132:135]// 000000003EDC: D3F30084 1E12D582
	v_mfma_f32_16x16x32_fp8_fp8 v[132:135], a[132:133], a[108:109], v[132:135]// 000000003EE4: D3F30084 1E12D984
	v_mfma_f32_16x16x32_fp8_fp8 v[132:135], a[134:135], a[110:111], v[132:135]// 000000003EEC: D3F30084 1E12DD86
	ds_read_b128 a[40:43], v2 offset:35584                     // 000000003EF4: DBFE8B00 28000002
	ds_read_b128 a[44:47], v2 offset:35648                     // 000000003EFC: DBFE8B40 2C000002
	v_mfma_f32_16x16x32_fp8_fp8 v[136:139], a[128:129], a[112:113], v[136:139]// 000000003F04: D3F30088 1E22E180
	s_add_u32 s60, 0x180, s80                                  // 000000003F0C: 803C50FF 00000180
	s_cmp_lt_u32 s60, s81                                      // 000000003F14: BF0A513C
	s_cselect_b32 s57, s57, 0                                  // 000000003F18: 85398039
	v_mfma_f32_16x16x32_fp8_fp8 v[136:139], a[130:131], a[114:115], v[136:139]// 000000003F1C: D3F30088 1E22E582
	s_add_u32 s60, 0x100, s80                                  // 000000003F24: 803C50FF 00000100
	s_cmp_lt_u32 s60, s81                                      // 000000003F2C: BF0A513C
	s_cselect_b32 s58, s58, 0                                  // 000000003F30: 853A803A
	v_mfma_f32_16x16x32_fp8_fp8 v[136:139], a[132:133], a[116:117], v[136:139]// 000000003F34: D3F30088 1E22E984
	s_add_u32 s60, 0x100, s80                                  // 000000003F3C: 803C50FF 00000100
	s_cmp_lt_u32 s60, s81                                      // 000000003F44: BF0A513C
	s_cselect_b32 s83, s83, 0                                  // 000000003F48: 85538053
	v_mfma_f32_16x16x32_fp8_fp8 v[136:139], a[134:135], a[118:119], v[136:139]// 000000003F4C: D3F30088 1E22ED86
	ds_read_b128 a[48:51], v2 offset:36096                     // 000000003F54: DBFE8D00 30000002
	ds_read_b128 a[52:55], v2 offset:36160                     // 000000003F5C: DBFE8D40 34000002
	s_add_u32 s24, s58, s24                                    // 000000003F64: 8018183A
	s_addc_u32 s25, 0, s25                                     // 000000003F68: 82191980
	v_mfma_f32_16x16x32_fp8_fp8 v[140:143], a[128:129], a[120:121], v[140:143]// 000000003F6C: D3F3008C 1E32F180
	s_add_u32 s20, s57, s20                                    // 000000003F74: 80141439
	s_addc_u32 s21, 0, s21                                     // 000000003F78: 82151580
	v_mfma_f32_16x16x32_fp8_fp8 v[140:143], a[130:131], a[122:123], v[140:143]// 000000003F7C: D3F3008C 1E32F582
	s_add_u32 s84, s83, s84                                    // 000000003F84: 80545453
	s_addc_u32 s85, 0, s85                                     // 000000003F88: 82555580
	v_mfma_f32_16x16x32_fp8_fp8 v[140:143], a[132:133], a[124:125], v[140:143]// 000000003F8C: D3F3008C 1E32F984
	v_mfma_f32_16x16x32_fp8_fp8 v[140:143], a[134:135], a[126:127], v[140:143]// 000000003F94: D3F3008C 1E32FD86
	ds_read_b128 a[56:59], v2 offset:36608                     // 000000003F9C: DBFE8F00 38000002
	ds_read_b128 a[60:63], v2 offset:36672                     // 000000003FA4: DBFE8F40 3C000002
	s_addk_i32 s80, 0x80                                       // 000000003FAC: B7500080
	s_cmp_lt_i32 s80, s81                                      // 000000003FB0: BF045150
	s_cbranch_scc0 label_096B                                  // 000000003FB4: BF8403FD
	s_waitcnt vmcnt(18) lgkmcnt(0)                             // 000000003FB8: BF8C4072
	v_mfma_f32_16x16x32_fp8_fp8 v[80:83], a[136:137], a[0:1], v[80:83]// 000000003FBC: D3F30050 1D420188
	v_mfma_f32_16x16x32_fp8_fp8 v[80:83], a[138:139], a[2:3], v[80:83]// 000000003FC4: D3F30050 1D42058A
	buffer_load_dwordx4 a[128:131], v78, s[24:27], 0 offen     // 000000003FCC: E05C1000 8086804E
	v_mfma_f32_16x16x32_fp8_fp8 v[80:83], a[140:141], a[4:5], v[80:83]// 000000003FD4: D3F30050 1D42098C
	v_mfma_f32_16x16x32_fp8_fp8 v[80:83], a[142:143], a[6:7], v[80:83]// 000000003FDC: D3F30050 1D420D8E
	v_mfma_f32_16x16x32_fp8_fp8 v[84:87], a[136:137], a[8:9], v[84:87]// 000000003FE4: D3F30054 1D521188
	v_mfma_f32_16x16x32_fp8_fp8 v[84:87], a[138:139], a[10:11], v[84:87]// 000000003FEC: D3F30054 1D52158A
	buffer_load_dwordx4 a[132:135], v78, s[24:27], 0 offen offset:1024// 000000003FF4: E05C1400 8086844E
	buffer_load_dword v62, s[20:23], 0 offen lds               // 000000003FFC: E0511000 8005003E
	s_add_u32 m0, 0x100, s49                                   // 000000004004: 807C31FF 00000100
	v_mfma_f32_16x16x32_fp8_fp8 v[84:87], a[140:141], a[12:13], v[84:87]// 00000000400C: D3F30054 1D52198C
	v_mfma_f32_16x16x32_fp8_fp8 v[84:87], a[142:143], a[14:15], v[84:87]// 000000004014: D3F30054 1D521D8E
	buffer_load_dword v63, s[20:23], 0 offen lds               // 00000000401C: E0511000 8005003F
	s_add_u32 m0, 0x200, s49                                   // 000000004024: 807C31FF 00000200
	v_mfma_f32_16x16x32_fp8_fp8 v[88:91], a[136:137], a[16:17], v[88:91]// 00000000402C: D3F30058 1D622188
	v_mfma_f32_16x16x32_fp8_fp8 v[88:91], a[138:139], a[18:19], v[88:91]// 000000004034: D3F30058 1D62258A
	buffer_load_dword v64, s[20:23], 0 offen lds               // 00000000403C: E0511000 80050040
	s_add_u32 m0, 0x300, s49                                   // 000000004044: 807C31FF 00000300
	v_mfma_f32_16x16x32_fp8_fp8 v[88:91], a[140:141], a[20:21], v[88:91]// 00000000404C: D3F30058 1D62298C
	v_mfma_f32_16x16x32_fp8_fp8 v[88:91], a[142:143], a[22:23], v[88:91]// 000000004054: D3F30058 1D622D8E
	buffer_load_dword v65, s[20:23], 0 offen lds               // 00000000405C: E0511000 80050041
	s_add_u32 m0, 0x400, s49                                   // 000000004064: 807C31FF 00000400
	v_mfma_f32_16x16x32_fp8_fp8 v[92:95], a[136:137], a[24:25], v[92:95]// 00000000406C: D3F3005C 1D723188
	v_mfma_f32_16x16x32_fp8_fp8 v[92:95], a[138:139], a[26:27], v[92:95]// 000000004074: D3F3005C 1D72358A
	buffer_load_dword v66, s[20:23], 0 offen lds               // 00000000407C: E0511000 80050042
	s_add_u32 m0, 0x500, s49                                   // 000000004084: 807C31FF 00000500
	v_mfma_f32_16x16x32_fp8_fp8 v[92:95], a[140:141], a[28:29], v[92:95]// 00000000408C: D3F3005C 1D72398C
	v_mfma_f32_16x16x32_fp8_fp8 v[92:95], a[142:143], a[30:31], v[92:95]// 000000004094: D3F3005C 1D723D8E
	buffer_load_dword v67, s[20:23], 0 offen lds               // 00000000409C: E0511000 80050043
	s_add_u32 m0, 0x600, s49                                   // 0000000040A4: 807C31FF 00000600
	v_mfma_f32_16x16x32_fp8_fp8 v[96:99], a[136:137], a[32:33], v[96:99]// 0000000040AC: D3F30060 1D824188
	v_mfma_f32_16x16x32_fp8_fp8 v[96:99], a[138:139], a[34:35], v[96:99]// 0000000040B4: D3F30060 1D82458A
	v_mfma_f32_16x16x32_fp8_fp8 v[96:99], a[140:141], a[36:37], v[96:99]// 0000000040BC: D3F30060 1D82498C
	v_mfma_f32_16x16x32_fp8_fp8 v[96:99], a[142:143], a[38:39], v[96:99]// 0000000040C4: D3F30060 1D824D8E
	v_mfma_f32_16x16x32_fp8_fp8 v[100:103], a[136:137], a[40:41], v[100:103]// 0000000040CC: D3F30064 1D925188
	v_mfma_f32_16x16x32_fp8_fp8 v[100:103], a[138:139], a[42:43], v[100:103]// 0000000040D4: D3F30064 1D92558A
	buffer_load_dword v68, s[20:23], 0 offen lds               // 0000000040DC: E0511000 80050044
	s_add_u32 m0, 0x700, s49                                   // 0000000040E4: 807C31FF 00000700
	v_mfma_f32_16x16x32_fp8_fp8 v[100:103], a[140:141], a[44:45], v[100:103]// 0000000040EC: D3F30064 1D92598C
	v_mfma_f32_16x16x32_fp8_fp8 v[100:103], a[142:143], a[46:47], v[100:103]// 0000000040F4: D3F30064 1D925D8E
	buffer_load_dword v69, s[20:23], 0 offen lds               // 0000000040FC: E0511000 80050045
	s_add_u32 m0, 0x800, s49                                   // 000000004104: 807C31FF 00000800
	v_mfma_f32_16x16x32_fp8_fp8 v[104:107], a[136:137], a[48:49], v[104:107]// 00000000410C: D3F30068 1DA26188
	v_mfma_f32_16x16x32_fp8_fp8 v[104:107], a[138:139], a[50:51], v[104:107]// 000000004114: D3F30068 1DA2658A
	v_mfma_f32_16x16x32_fp8_fp8 v[104:107], a[140:141], a[52:53], v[104:107]// 00000000411C: D3F30068 1DA2698C
	v_mfma_f32_16x16x32_fp8_fp8 v[104:107], a[142:143], a[54:55], v[104:107]// 000000004124: D3F30068 1DA26D8E
	v_mfma_f32_16x16x32_fp8_fp8 v[108:111], a[136:137], a[56:57], v[108:111]// 00000000412C: D3F3006C 1DB27188
	v_mfma_f32_16x16x32_fp8_fp8 v[108:111], a[138:139], a[58:59], v[108:111]// 000000004134: D3F3006C 1DB2758A
	buffer_load_dword v70, s[20:23], 0 offen lds               // 00000000413C: E0511000 80050046
	s_add_u32 m0, 0x900, s49                                   // 000000004144: 807C31FF 00000900
	v_mfma_f32_16x16x32_fp8_fp8 v[108:111], a[140:141], a[60:61], v[108:111]// 00000000414C: D3F3006C 1DB2798C
	v_mfma_f32_16x16x32_fp8_fp8 v[108:111], a[142:143], a[62:63], v[108:111]// 000000004154: D3F3006C 1DB27D8E
	buffer_load_dword v71, s[20:23], 0 offen lds               // 00000000415C: E0511000 80050047
	s_add_u32 m0, 0xa00, s49                                   // 000000004164: 807C31FF 00000A00
	buffer_load_dword v72, s[20:23], 0 offen lds               // 00000000416C: E0511000 80050048
	s_add_u32 m0, 0xb00, s49                                   // 000000004174: 807C31FF 00000B00
	buffer_load_dword v73, s[20:23], 0 offen lds               // 00000000417C: E0511000 80050049
	s_add_u32 m0, 0xc00, s49                                   // 000000004184: 807C31FF 00000C00
	buffer_load_dword v74, s[20:23], 0 offen lds               // 00000000418C: E0511000 8005004A
	s_add_u32 m0, 0xd00, s49                                   // 000000004194: 807C31FF 00000D00
	buffer_load_dword v75, s[20:23], 0 offen lds               // 00000000419C: E0511000 8005004B
	s_add_u32 m0, 0xe00, s49                                   // 0000000041A4: 807C31FF 00000E00
	buffer_load_dword v76, s[20:23], 0 offen lds               // 0000000041AC: E0511000 8005004C
	s_add_u32 m0, 0xf00, s49                                   // 0000000041B4: 807C31FF 00000F00
	buffer_load_dword v77, s[20:23], 0 offen lds               // 0000000041BC: E0511000 8005004D
	s_add_u32 m0, 0, s50                                       // 0000000041C4: 807C3280
	s_waitcnt vmcnt(18)                                        // 0000000041C8: BF8C4F72
	s_barrier                                                  // 0000000041CC: BF8A0000
	v_mfma_f32_16x16x32_fp8_fp8 v[112:115], a[144:145], a[0:1], v[112:115]// 0000000041D0: D3F30070 1DC20190
	v_mfma_f32_16x16x32_fp8_fp8 v[112:115], a[146:147], a[2:3], v[112:115]// 0000000041D8: D3F30070 1DC20592
	buffer_load_dwordx4 a[136:139], v78, s[84:87], 0 offen     // 0000000041E0: E05C1000 8095884E
	v_mfma_f32_16x16x32_fp8_fp8 v[112:115], a[148:149], a[4:5], v[112:115]// 0000000041E8: D3F30070 1DC20994
	v_mfma_f32_16x16x32_fp8_fp8 v[112:115], a[150:151], a[6:7], v[112:115]// 0000000041F0: D3F30070 1DC20D96
	ds_read_b128 a[64:67], v2                                  // 0000000041F8: DBFE0000 40000002
	ds_read_b128 a[68:71], v2 offset:64                        // 000000004200: DBFE0040 44000002
	v_mfma_f32_16x16x32_fp8_fp8 v[116:119], a[144:145], a[8:9], v[116:119]// 000000004208: D3F30074 1DD21190
	v_mfma_f32_16x16x32_fp8_fp8 v[116:119], a[146:147], a[10:11], v[116:119]// 000000004210: D3F30074 1DD21592
	buffer_load_dwordx4 a[140:143], v78, s[84:87], 0 offen offset:1024// 000000004218: E05C1400 80958C4E
	v_mfma_f32_16x16x32_fp8_fp8 v[116:119], a[148:149], a[12:13], v[116:119]// 000000004220: D3F30074 1DD21994
	v_mfma_f32_16x16x32_fp8_fp8 v[116:119], a[150:151], a[14:15], v[116:119]// 000000004228: D3F30074 1DD21D96
	ds_read_b128 a[72:75], v2 offset:512                       // 000000004230: DBFE0200 48000002
	ds_read_b128 a[76:79], v2 offset:576                       // 000000004238: DBFE0240 4C000002
	v_mfma_f32_16x16x32_fp8_fp8 v[120:123], a[144:145], a[16:17], v[120:123]// 000000004240: D3F30078 1DE22190
	v_mfma_f32_16x16x32_fp8_fp8 v[120:123], a[146:147], a[18:19], v[120:123]// 000000004248: D3F30078 1DE22592
	v_mfma_f32_16x16x32_fp8_fp8 v[120:123], a[148:149], a[20:21], v[120:123]// 000000004250: D3F30078 1DE22994
	v_mfma_f32_16x16x32_fp8_fp8 v[120:123], a[150:151], a[22:23], v[120:123]// 000000004258: D3F30078 1DE22D96
	ds_read_b128 a[80:83], v2 offset:1024                      // 000000004260: DBFE0400 50000002
	ds_read_b128 a[84:87], v2 offset:1088                      // 000000004268: DBFE0440 54000002
	v_mfma_f32_16x16x32_fp8_fp8 v[124:127], a[144:145], a[24:25], v[124:127]// 000000004270: D3F3007C 1DF23190
	v_mfma_f32_16x16x32_fp8_fp8 v[124:127], a[146:147], a[26:27], v[124:127]// 000000004278: D3F3007C 1DF23592
	v_mfma_f32_16x16x32_fp8_fp8 v[124:127], a[148:149], a[28:29], v[124:127]// 000000004280: D3F3007C 1DF23994
	v_mfma_f32_16x16x32_fp8_fp8 v[124:127], a[150:151], a[30:31], v[124:127]// 000000004288: D3F3007C 1DF23D96
	ds_read_b128 a[88:91], v2 offset:1536                      // 000000004290: DBFE0600 58000002
	ds_read_b128 a[92:95], v2 offset:1600                      // 000000004298: DBFE0640 5C000002
	v_mfma_f32_16x16x32_fp8_fp8 v[128:131], a[144:145], a[32:33], v[128:131]// 0000000042A0: D3F30080 1E024190
	v_mfma_f32_16x16x32_fp8_fp8 v[128:131], a[146:147], a[34:35], v[128:131]// 0000000042A8: D3F30080 1E024592
	v_mfma_f32_16x16x32_fp8_fp8 v[128:131], a[148:149], a[36:37], v[128:131]// 0000000042B0: D3F30080 1E024994
	v_mfma_f32_16x16x32_fp8_fp8 v[128:131], a[150:151], a[38:39], v[128:131]// 0000000042B8: D3F30080 1E024D96
	ds_read_b128 a[96:99], v2 offset:2048                      // 0000000042C0: DBFE0800 60000002
	ds_read_b128 a[100:103], v2 offset:2112                    // 0000000042C8: DBFE0840 64000002
	v_mfma_f32_16x16x32_fp8_fp8 v[132:135], a[144:145], a[40:41], v[132:135]// 0000000042D0: D3F30084 1E125190
	v_mfma_f32_16x16x32_fp8_fp8 v[132:135], a[146:147], a[42:43], v[132:135]// 0000000042D8: D3F30084 1E125592
	v_mfma_f32_16x16x32_fp8_fp8 v[132:135], a[148:149], a[44:45], v[132:135]// 0000000042E0: D3F30084 1E125994
	v_mfma_f32_16x16x32_fp8_fp8 v[132:135], a[150:151], a[46:47], v[132:135]// 0000000042E8: D3F30084 1E125D96
	ds_read_b128 a[104:107], v2 offset:2560                    // 0000000042F0: DBFE0A00 68000002
	ds_read_b128 a[108:111], v2 offset:2624                    // 0000000042F8: DBFE0A40 6C000002
	v_mfma_f32_16x16x32_fp8_fp8 v[136:139], a[144:145], a[48:49], v[136:139]// 000000004300: D3F30088 1E226190
	s_add_u32 s60, 0x180, s80                                  // 000000004308: 803C50FF 00000180
	s_cmp_lt_u32 s60, s81                                      // 000000004310: BF0A513C
	s_cselect_b32 s57, s57, 0                                  // 000000004314: 85398039
	v_mfma_f32_16x16x32_fp8_fp8 v[136:139], a[146:147], a[50:51], v[136:139]// 000000004318: D3F30088 1E226592
	s_add_u32 s60, 0x100, s80                                  // 000000004320: 803C50FF 00000100
	s_cmp_lt_u32 s60, s81                                      // 000000004328: BF0A513C
	s_cselect_b32 s58, s58, 0                                  // 00000000432C: 853A803A
	v_mfma_f32_16x16x32_fp8_fp8 v[136:139], a[148:149], a[52:53], v[136:139]// 000000004330: D3F30088 1E226994
	s_add_u32 s60, 0x100, s80                                  // 000000004338: 803C50FF 00000100
	s_cmp_lt_u32 s60, s81                                      // 000000004340: BF0A513C
	s_cselect_b32 s83, s83, 0                                  // 000000004344: 85538053
	v_mfma_f32_16x16x32_fp8_fp8 v[136:139], a[150:151], a[54:55], v[136:139]// 000000004348: D3F30088 1E226D96
	ds_read_b128 a[112:115], v2 offset:3072                    // 000000004350: DBFE0C00 70000002
	ds_read_b128 a[116:119], v2 offset:3136                    // 000000004358: DBFE0C40 74000002
	s_add_u32 s24, s58, s24                                    // 000000004360: 8018183A
	s_addc_u32 s25, 0, s25                                     // 000000004364: 82191980
	v_mfma_f32_16x16x32_fp8_fp8 v[140:143], a[144:145], a[56:57], v[140:143]// 000000004368: D3F3008C 1E327190
	s_add_u32 s20, s57, s20                                    // 000000004370: 80141439
	s_addc_u32 s21, 0, s21                                     // 000000004374: 82151580
	v_mfma_f32_16x16x32_fp8_fp8 v[140:143], a[146:147], a[58:59], v[140:143]// 000000004378: D3F3008C 1E327592
	s_add_u32 s84, s83, s84                                    // 000000004380: 80545453
	s_addc_u32 s85, 0, s85                                     // 000000004384: 82555580
	v_mfma_f32_16x16x32_fp8_fp8 v[140:143], a[148:149], a[60:61], v[140:143]// 000000004388: D3F3008C 1E327994
	v_mfma_f32_16x16x32_fp8_fp8 v[140:143], a[150:151], a[62:63], v[140:143]// 000000004390: D3F3008C 1E327D96
	ds_read_b128 a[120:123], v2 offset:3584                    // 000000004398: DBFE0E00 78000002
	ds_read_b128 a[124:127], v2 offset:3648                    // 0000000043A0: DBFE0E40 7C000002
	s_addk_i32 s80, 0x80                                       // 0000000043A8: B7500080
	s_cmp_lt_i32 s80, s81                                      // 0000000043AC: BF045150
	s_cbranch_scc0 label_096B                                  // 0000000043B0: BF8402FE
	s_waitcnt vmcnt(18) lgkmcnt(0)                             // 0000000043B4: BF8C4072
	v_mfma_f32_16x16x32_fp8_fp8 v[80:83], a[128:129], a[64:65], v[80:83]// 0000000043B8: D3F30050 1D428180
	v_mfma_f32_16x16x32_fp8_fp8 v[80:83], a[130:131], a[66:67], v[80:83]// 0000000043C0: D3F30050 1D428582
	buffer_load_dwordx4 a[144:147], v78, s[24:27], 0 offen     // 0000000043C8: E05C1000 8086904E
	v_mfma_f32_16x16x32_fp8_fp8 v[80:83], a[132:133], a[68:69], v[80:83]// 0000000043D0: D3F30050 1D428984
	v_mfma_f32_16x16x32_fp8_fp8 v[80:83], a[134:135], a[70:71], v[80:83]// 0000000043D8: D3F30050 1D428D86
	v_mfma_f32_16x16x32_fp8_fp8 v[84:87], a[128:129], a[72:73], v[84:87]// 0000000043E0: D3F30054 1D529180
	v_mfma_f32_16x16x32_fp8_fp8 v[84:87], a[130:131], a[74:75], v[84:87]// 0000000043E8: D3F30054 1D529582
	buffer_load_dwordx4 a[148:151], v78, s[24:27], 0 offen offset:1024// 0000000043F0: E05C1400 8086944E
	buffer_load_dword v62, s[20:23], 0 offen lds               // 0000000043F8: E0511000 8005003E
	s_add_u32 m0, 0x100, s50                                   // 000000004400: 807C32FF 00000100
	v_mfma_f32_16x16x32_fp8_fp8 v[84:87], a[132:133], a[76:77], v[84:87]// 000000004408: D3F30054 1D529984
	v_mfma_f32_16x16x32_fp8_fp8 v[84:87], a[134:135], a[78:79], v[84:87]// 000000004410: D3F30054 1D529D86
	buffer_load_dword v63, s[20:23], 0 offen lds               // 000000004418: E0511000 8005003F
	s_add_u32 m0, 0x200, s50                                   // 000000004420: 807C32FF 00000200
	v_mfma_f32_16x16x32_fp8_fp8 v[88:91], a[128:129], a[80:81], v[88:91]// 000000004428: D3F30058 1D62A180
	v_mfma_f32_16x16x32_fp8_fp8 v[88:91], a[130:131], a[82:83], v[88:91]// 000000004430: D3F30058 1D62A582
	buffer_load_dword v64, s[20:23], 0 offen lds               // 000000004438: E0511000 80050040
	s_add_u32 m0, 0x300, s50                                   // 000000004440: 807C32FF 00000300
	v_mfma_f32_16x16x32_fp8_fp8 v[88:91], a[132:133], a[84:85], v[88:91]// 000000004448: D3F30058 1D62A984
	v_mfma_f32_16x16x32_fp8_fp8 v[88:91], a[134:135], a[86:87], v[88:91]// 000000004450: D3F30058 1D62AD86
	buffer_load_dword v65, s[20:23], 0 offen lds               // 000000004458: E0511000 80050041
	s_add_u32 m0, 0x400, s50                                   // 000000004460: 807C32FF 00000400
	v_mfma_f32_16x16x32_fp8_fp8 v[92:95], a[128:129], a[88:89], v[92:95]// 000000004468: D3F3005C 1D72B180
	v_mfma_f32_16x16x32_fp8_fp8 v[92:95], a[130:131], a[90:91], v[92:95]// 000000004470: D3F3005C 1D72B582
	buffer_load_dword v66, s[20:23], 0 offen lds               // 000000004478: E0511000 80050042
	s_add_u32 m0, 0x500, s50                                   // 000000004480: 807C32FF 00000500
	v_mfma_f32_16x16x32_fp8_fp8 v[92:95], a[132:133], a[92:93], v[92:95]// 000000004488: D3F3005C 1D72B984
	v_mfma_f32_16x16x32_fp8_fp8 v[92:95], a[134:135], a[94:95], v[92:95]// 000000004490: D3F3005C 1D72BD86
	buffer_load_dword v67, s[20:23], 0 offen lds               // 000000004498: E0511000 80050043
	s_add_u32 m0, 0x600, s50                                   // 0000000044A0: 807C32FF 00000600
	v_mfma_f32_16x16x32_fp8_fp8 v[96:99], a[128:129], a[96:97], v[96:99]// 0000000044A8: D3F30060 1D82C180
	v_mfma_f32_16x16x32_fp8_fp8 v[96:99], a[130:131], a[98:99], v[96:99]// 0000000044B0: D3F30060 1D82C582
	v_mfma_f32_16x16x32_fp8_fp8 v[96:99], a[132:133], a[100:101], v[96:99]// 0000000044B8: D3F30060 1D82C984
	v_mfma_f32_16x16x32_fp8_fp8 v[96:99], a[134:135], a[102:103], v[96:99]// 0000000044C0: D3F30060 1D82CD86
	v_mfma_f32_16x16x32_fp8_fp8 v[100:103], a[128:129], a[104:105], v[100:103]// 0000000044C8: D3F30064 1D92D180
	v_mfma_f32_16x16x32_fp8_fp8 v[100:103], a[130:131], a[106:107], v[100:103]// 0000000044D0: D3F30064 1D92D582
	buffer_load_dword v68, s[20:23], 0 offen lds               // 0000000044D8: E0511000 80050044
	s_add_u32 m0, 0x700, s50                                   // 0000000044E0: 807C32FF 00000700
	v_mfma_f32_16x16x32_fp8_fp8 v[100:103], a[132:133], a[108:109], v[100:103]// 0000000044E8: D3F30064 1D92D984
	v_mfma_f32_16x16x32_fp8_fp8 v[100:103], a[134:135], a[110:111], v[100:103]// 0000000044F0: D3F30064 1D92DD86
	buffer_load_dword v69, s[20:23], 0 offen lds               // 0000000044F8: E0511000 80050045
	s_add_u32 m0, 0x800, s50                                   // 000000004500: 807C32FF 00000800
	v_mfma_f32_16x16x32_fp8_fp8 v[104:107], a[128:129], a[112:113], v[104:107]// 000000004508: D3F30068 1DA2E180
	v_mfma_f32_16x16x32_fp8_fp8 v[104:107], a[130:131], a[114:115], v[104:107]// 000000004510: D3F30068 1DA2E582
	v_mfma_f32_16x16x32_fp8_fp8 v[104:107], a[132:133], a[116:117], v[104:107]// 000000004518: D3F30068 1DA2E984
	v_mfma_f32_16x16x32_fp8_fp8 v[104:107], a[134:135], a[118:119], v[104:107]// 000000004520: D3F30068 1DA2ED86
	v_mfma_f32_16x16x32_fp8_fp8 v[108:111], a[128:129], a[120:121], v[108:111]// 000000004528: D3F3006C 1DB2F180
	v_mfma_f32_16x16x32_fp8_fp8 v[108:111], a[130:131], a[122:123], v[108:111]// 000000004530: D3F3006C 1DB2F582
	buffer_load_dword v70, s[20:23], 0 offen lds               // 000000004538: E0511000 80050046
	s_add_u32 m0, 0x900, s50                                   // 000000004540: 807C32FF 00000900
	v_mfma_f32_16x16x32_fp8_fp8 v[108:111], a[132:133], a[124:125], v[108:111]// 000000004548: D3F3006C 1DB2F984
	v_mfma_f32_16x16x32_fp8_fp8 v[108:111], a[134:135], a[126:127], v[108:111]// 000000004550: D3F3006C 1DB2FD86
	buffer_load_dword v71, s[20:23], 0 offen lds               // 000000004558: E0511000 80050047
	s_add_u32 m0, 0xa00, s50                                   // 000000004560: 807C32FF 00000A00
	buffer_load_dword v72, s[20:23], 0 offen lds               // 000000004568: E0511000 80050048
	s_add_u32 m0, 0xb00, s50                                   // 000000004570: 807C32FF 00000B00
	buffer_load_dword v73, s[20:23], 0 offen lds               // 000000004578: E0511000 80050049
	s_add_u32 m0, 0xc00, s50                                   // 000000004580: 807C32FF 00000C00
	buffer_load_dword v74, s[20:23], 0 offen lds               // 000000004588: E0511000 8005004A
	s_add_u32 m0, 0xd00, s50                                   // 000000004590: 807C32FF 00000D00
	buffer_load_dword v75, s[20:23], 0 offen lds               // 000000004598: E0511000 8005004B
	s_add_u32 m0, 0xe00, s50                                   // 0000000045A0: 807C32FF 00000E00
	buffer_load_dword v76, s[20:23], 0 offen lds               // 0000000045A8: E0511000 8005004C
	s_add_u32 m0, 0xf00, s50                                   // 0000000045B0: 807C32FF 00000F00
	buffer_load_dword v77, s[20:23], 0 offen lds               // 0000000045B8: E0511000 8005004D
	s_add_u32 m0, 0, s48                                       // 0000000045C0: 807C3080
	s_waitcnt vmcnt(18)                                        // 0000000045C4: BF8C4F72
	s_barrier                                                  // 0000000045C8: BF8A0000
	v_mfma_f32_16x16x32_fp8_fp8 v[112:115], a[136:137], a[64:65], v[112:115]// 0000000045CC: D3F30070 1DC28188
	v_mfma_f32_16x16x32_fp8_fp8 v[112:115], a[138:139], a[66:67], v[112:115]// 0000000045D4: D3F30070 1DC2858A
	buffer_load_dwordx4 a[128:131], v78, s[84:87], 0 offen     // 0000000045DC: E05C1000 8095804E
	v_mfma_f32_16x16x32_fp8_fp8 v[112:115], a[140:141], a[68:69], v[112:115]// 0000000045E4: D3F30070 1DC2898C
	v_mfma_f32_16x16x32_fp8_fp8 v[112:115], a[142:143], a[70:71], v[112:115]// 0000000045EC: D3F30070 1DC28D8E
	ds_read_b128 a[0:3], v2 offset:16512                       // 0000000045F4: DBFE4080 00000002
	ds_read_b128 a[4:7], v2 offset:16576                       // 0000000045FC: DBFE40C0 04000002
	v_mfma_f32_16x16x32_fp8_fp8 v[116:119], a[136:137], a[72:73], v[116:119]// 000000004604: D3F30074 1DD29188
	v_mfma_f32_16x16x32_fp8_fp8 v[116:119], a[138:139], a[74:75], v[116:119]// 00000000460C: D3F30074 1DD2958A
	buffer_load_dwordx4 a[132:135], v78, s[84:87], 0 offen offset:1024// 000000004614: E05C1400 8095844E
	v_mfma_f32_16x16x32_fp8_fp8 v[116:119], a[140:141], a[76:77], v[116:119]// 00000000461C: D3F30074 1DD2998C
	v_mfma_f32_16x16x32_fp8_fp8 v[116:119], a[142:143], a[78:79], v[116:119]// 000000004624: D3F30074 1DD29D8E
	ds_read_b128 a[8:11], v2 offset:17024                      // 00000000462C: DBFE4280 08000002
	ds_read_b128 a[12:15], v2 offset:17088                     // 000000004634: DBFE42C0 0C000002
	v_mfma_f32_16x16x32_fp8_fp8 v[120:123], a[136:137], a[80:81], v[120:123]// 00000000463C: D3F30078 1DE2A188
	v_mfma_f32_16x16x32_fp8_fp8 v[120:123], a[138:139], a[82:83], v[120:123]// 000000004644: D3F30078 1DE2A58A
	v_mfma_f32_16x16x32_fp8_fp8 v[120:123], a[140:141], a[84:85], v[120:123]// 00000000464C: D3F30078 1DE2A98C
	v_mfma_f32_16x16x32_fp8_fp8 v[120:123], a[142:143], a[86:87], v[120:123]// 000000004654: D3F30078 1DE2AD8E
	ds_read_b128 a[16:19], v2 offset:17536                     // 00000000465C: DBFE4480 10000002
	ds_read_b128 a[20:23], v2 offset:17600                     // 000000004664: DBFE44C0 14000002
	v_mfma_f32_16x16x32_fp8_fp8 v[124:127], a[136:137], a[88:89], v[124:127]// 00000000466C: D3F3007C 1DF2B188
	v_mfma_f32_16x16x32_fp8_fp8 v[124:127], a[138:139], a[90:91], v[124:127]// 000000004674: D3F3007C 1DF2B58A
	v_mfma_f32_16x16x32_fp8_fp8 v[124:127], a[140:141], a[92:93], v[124:127]// 00000000467C: D3F3007C 1DF2B98C
	v_mfma_f32_16x16x32_fp8_fp8 v[124:127], a[142:143], a[94:95], v[124:127]// 000000004684: D3F3007C 1DF2BD8E
	ds_read_b128 a[24:27], v2 offset:18048                     // 00000000468C: DBFE4680 18000002
	ds_read_b128 a[28:31], v2 offset:18112                     // 000000004694: DBFE46C0 1C000002
	v_mfma_f32_16x16x32_fp8_fp8 v[128:131], a[136:137], a[96:97], v[128:131]// 00000000469C: D3F30080 1E02C188
	v_mfma_f32_16x16x32_fp8_fp8 v[128:131], a[138:139], a[98:99], v[128:131]// 0000000046A4: D3F30080 1E02C58A
	v_mfma_f32_16x16x32_fp8_fp8 v[128:131], a[140:141], a[100:101], v[128:131]// 0000000046AC: D3F30080 1E02C98C
	v_mfma_f32_16x16x32_fp8_fp8 v[128:131], a[142:143], a[102:103], v[128:131]// 0000000046B4: D3F30080 1E02CD8E
	ds_read_b128 a[32:35], v2 offset:18560                     // 0000000046BC: DBFE4880 20000002
	ds_read_b128 a[36:39], v2 offset:18624                     // 0000000046C4: DBFE48C0 24000002
	v_mfma_f32_16x16x32_fp8_fp8 v[132:135], a[136:137], a[104:105], v[132:135]// 0000000046CC: D3F30084 1E12D188
	v_mfma_f32_16x16x32_fp8_fp8 v[132:135], a[138:139], a[106:107], v[132:135]// 0000000046D4: D3F30084 1E12D58A
	v_mfma_f32_16x16x32_fp8_fp8 v[132:135], a[140:141], a[108:109], v[132:135]// 0000000046DC: D3F30084 1E12D98C
	v_mfma_f32_16x16x32_fp8_fp8 v[132:135], a[142:143], a[110:111], v[132:135]// 0000000046E4: D3F30084 1E12DD8E
	ds_read_b128 a[40:43], v2 offset:19072                     // 0000000046EC: DBFE4A80 28000002
	ds_read_b128 a[44:47], v2 offset:19136                     // 0000000046F4: DBFE4AC0 2C000002
	v_mfma_f32_16x16x32_fp8_fp8 v[136:139], a[136:137], a[112:113], v[136:139]// 0000000046FC: D3F30088 1E22E188
	s_add_u32 s60, 0x180, s80                                  // 000000004704: 803C50FF 00000180
	s_cmp_lt_u32 s60, s81                                      // 00000000470C: BF0A513C
	s_cselect_b32 s57, s57, 0                                  // 000000004710: 85398039
	v_mfma_f32_16x16x32_fp8_fp8 v[136:139], a[138:139], a[114:115], v[136:139]// 000000004714: D3F30088 1E22E58A
	s_add_u32 s60, 0x100, s80                                  // 00000000471C: 803C50FF 00000100
	s_cmp_lt_u32 s60, s81                                      // 000000004724: BF0A513C
	s_cselect_b32 s58, s58, 0                                  // 000000004728: 853A803A
	v_mfma_f32_16x16x32_fp8_fp8 v[136:139], a[140:141], a[116:117], v[136:139]// 00000000472C: D3F30088 1E22E98C
	s_add_u32 s60, 0x100, s80                                  // 000000004734: 803C50FF 00000100
	s_cmp_lt_u32 s60, s81                                      // 00000000473C: BF0A513C
	s_cselect_b32 s83, s83, 0                                  // 000000004740: 85538053
	v_mfma_f32_16x16x32_fp8_fp8 v[136:139], a[142:143], a[118:119], v[136:139]// 000000004744: D3F30088 1E22ED8E
	ds_read_b128 a[48:51], v2 offset:19584                     // 00000000474C: DBFE4C80 30000002
	ds_read_b128 a[52:55], v2 offset:19648                     // 000000004754: DBFE4CC0 34000002
	s_add_u32 s24, s58, s24                                    // 00000000475C: 8018183A
	s_addc_u32 s25, 0, s25                                     // 000000004760: 82191980
	v_mfma_f32_16x16x32_fp8_fp8 v[140:143], a[136:137], a[120:121], v[140:143]// 000000004764: D3F3008C 1E32F188
	s_add_u32 s20, s57, s20                                    // 00000000476C: 80141439
	s_addc_u32 s21, 0, s21                                     // 000000004770: 82151580
	v_mfma_f32_16x16x32_fp8_fp8 v[140:143], a[138:139], a[122:123], v[140:143]// 000000004774: D3F3008C 1E32F58A
	s_add_u32 s84, s83, s84                                    // 00000000477C: 80545453
	s_addc_u32 s85, 0, s85                                     // 000000004780: 82555580
	v_mfma_f32_16x16x32_fp8_fp8 v[140:143], a[140:141], a[124:125], v[140:143]// 000000004784: D3F3008C 1E32F98C
	v_mfma_f32_16x16x32_fp8_fp8 v[140:143], a[142:143], a[126:127], v[140:143]// 00000000478C: D3F3008C 1E32FD8E
	ds_read_b128 a[56:59], v2 offset:20096                     // 000000004794: DBFE4E80 38000002
	ds_read_b128 a[60:63], v2 offset:20160                     // 00000000479C: DBFE4EC0 3C000002
	s_addk_i32 s80, 0x80                                       // 0000000047A4: B7500080
	s_cmp_lt_i32 s80, s81                                      // 0000000047A8: BF045150
	s_cbranch_scc0 label_096B                                  // 0000000047AC: BF8401FF
	s_waitcnt vmcnt(18) lgkmcnt(0)                             // 0000000047B0: BF8C4072
	v_mfma_f32_16x16x32_fp8_fp8 v[80:83], a[144:145], a[0:1], v[80:83]// 0000000047B4: D3F30050 1D420190
	v_mfma_f32_16x16x32_fp8_fp8 v[80:83], a[146:147], a[2:3], v[80:83]// 0000000047BC: D3F30050 1D420592
	buffer_load_dwordx4 a[136:139], v78, s[24:27], 0 offen     // 0000000047C4: E05C1000 8086884E
	v_mfma_f32_16x16x32_fp8_fp8 v[80:83], a[148:149], a[4:5], v[80:83]// 0000000047CC: D3F30050 1D420994
	v_mfma_f32_16x16x32_fp8_fp8 v[80:83], a[150:151], a[6:7], v[80:83]// 0000000047D4: D3F30050 1D420D96
	v_mfma_f32_16x16x32_fp8_fp8 v[84:87], a[144:145], a[8:9], v[84:87]// 0000000047DC: D3F30054 1D521190
	v_mfma_f32_16x16x32_fp8_fp8 v[84:87], a[146:147], a[10:11], v[84:87]// 0000000047E4: D3F30054 1D521592
	buffer_load_dwordx4 a[140:143], v78, s[24:27], 0 offen offset:1024// 0000000047EC: E05C1400 80868C4E
	buffer_load_dword v62, s[20:23], 0 offen lds               // 0000000047F4: E0511000 8005003E
	s_add_u32 m0, 0x100, s48                                   // 0000000047FC: 807C30FF 00000100
	v_mfma_f32_16x16x32_fp8_fp8 v[84:87], a[148:149], a[12:13], v[84:87]// 000000004804: D3F30054 1D521994
	v_mfma_f32_16x16x32_fp8_fp8 v[84:87], a[150:151], a[14:15], v[84:87]// 00000000480C: D3F30054 1D521D96
	buffer_load_dword v63, s[20:23], 0 offen lds               // 000000004814: E0511000 8005003F
	s_add_u32 m0, 0x200, s48                                   // 00000000481C: 807C30FF 00000200
	v_mfma_f32_16x16x32_fp8_fp8 v[88:91], a[144:145], a[16:17], v[88:91]// 000000004824: D3F30058 1D622190
	v_mfma_f32_16x16x32_fp8_fp8 v[88:91], a[146:147], a[18:19], v[88:91]// 00000000482C: D3F30058 1D622592
	buffer_load_dword v64, s[20:23], 0 offen lds               // 000000004834: E0511000 80050040
	s_add_u32 m0, 0x300, s48                                   // 00000000483C: 807C30FF 00000300
	v_mfma_f32_16x16x32_fp8_fp8 v[88:91], a[148:149], a[20:21], v[88:91]// 000000004844: D3F30058 1D622994
	v_mfma_f32_16x16x32_fp8_fp8 v[88:91], a[150:151], a[22:23], v[88:91]// 00000000484C: D3F30058 1D622D96
	buffer_load_dword v65, s[20:23], 0 offen lds               // 000000004854: E0511000 80050041
	s_add_u32 m0, 0x400, s48                                   // 00000000485C: 807C30FF 00000400
	v_mfma_f32_16x16x32_fp8_fp8 v[92:95], a[144:145], a[24:25], v[92:95]// 000000004864: D3F3005C 1D723190
	v_mfma_f32_16x16x32_fp8_fp8 v[92:95], a[146:147], a[26:27], v[92:95]// 00000000486C: D3F3005C 1D723592
	buffer_load_dword v66, s[20:23], 0 offen lds               // 000000004874: E0511000 80050042
	s_add_u32 m0, 0x500, s48                                   // 00000000487C: 807C30FF 00000500
	v_mfma_f32_16x16x32_fp8_fp8 v[92:95], a[148:149], a[28:29], v[92:95]// 000000004884: D3F3005C 1D723994
	v_mfma_f32_16x16x32_fp8_fp8 v[92:95], a[150:151], a[30:31], v[92:95]// 00000000488C: D3F3005C 1D723D96
	buffer_load_dword v67, s[20:23], 0 offen lds               // 000000004894: E0511000 80050043
	s_add_u32 m0, 0x600, s48                                   // 00000000489C: 807C30FF 00000600
	v_mfma_f32_16x16x32_fp8_fp8 v[96:99], a[144:145], a[32:33], v[96:99]// 0000000048A4: D3F30060 1D824190
	v_mfma_f32_16x16x32_fp8_fp8 v[96:99], a[146:147], a[34:35], v[96:99]// 0000000048AC: D3F30060 1D824592
	v_mfma_f32_16x16x32_fp8_fp8 v[96:99], a[148:149], a[36:37], v[96:99]// 0000000048B4: D3F30060 1D824994
	v_mfma_f32_16x16x32_fp8_fp8 v[96:99], a[150:151], a[38:39], v[96:99]// 0000000048BC: D3F30060 1D824D96
	v_mfma_f32_16x16x32_fp8_fp8 v[100:103], a[144:145], a[40:41], v[100:103]// 0000000048C4: D3F30064 1D925190
	v_mfma_f32_16x16x32_fp8_fp8 v[100:103], a[146:147], a[42:43], v[100:103]// 0000000048CC: D3F30064 1D925592
	buffer_load_dword v68, s[20:23], 0 offen lds               // 0000000048D4: E0511000 80050044
	s_add_u32 m0, 0x700, s48                                   // 0000000048DC: 807C30FF 00000700
	v_mfma_f32_16x16x32_fp8_fp8 v[100:103], a[148:149], a[44:45], v[100:103]// 0000000048E4: D3F30064 1D925994
	v_mfma_f32_16x16x32_fp8_fp8 v[100:103], a[150:151], a[46:47], v[100:103]// 0000000048EC: D3F30064 1D925D96
	buffer_load_dword v69, s[20:23], 0 offen lds               // 0000000048F4: E0511000 80050045
	s_add_u32 m0, 0x800, s48                                   // 0000000048FC: 807C30FF 00000800
	v_mfma_f32_16x16x32_fp8_fp8 v[104:107], a[144:145], a[48:49], v[104:107]// 000000004904: D3F30068 1DA26190
	v_mfma_f32_16x16x32_fp8_fp8 v[104:107], a[146:147], a[50:51], v[104:107]// 00000000490C: D3F30068 1DA26592
	v_mfma_f32_16x16x32_fp8_fp8 v[104:107], a[148:149], a[52:53], v[104:107]// 000000004914: D3F30068 1DA26994
	v_mfma_f32_16x16x32_fp8_fp8 v[104:107], a[150:151], a[54:55], v[104:107]// 00000000491C: D3F30068 1DA26D96
	v_mfma_f32_16x16x32_fp8_fp8 v[108:111], a[144:145], a[56:57], v[108:111]// 000000004924: D3F3006C 1DB27190
	v_mfma_f32_16x16x32_fp8_fp8 v[108:111], a[146:147], a[58:59], v[108:111]// 00000000492C: D3F3006C 1DB27592
	buffer_load_dword v70, s[20:23], 0 offen lds               // 000000004934: E0511000 80050046
	s_add_u32 m0, 0x900, s48                                   // 00000000493C: 807C30FF 00000900
	v_mfma_f32_16x16x32_fp8_fp8 v[108:111], a[148:149], a[60:61], v[108:111]// 000000004944: D3F3006C 1DB27994
	v_mfma_f32_16x16x32_fp8_fp8 v[108:111], a[150:151], a[62:63], v[108:111]// 00000000494C: D3F3006C 1DB27D96
	buffer_load_dword v71, s[20:23], 0 offen lds               // 000000004954: E0511000 80050047
	s_add_u32 m0, 0xa00, s48                                   // 00000000495C: 807C30FF 00000A00
	buffer_load_dword v72, s[20:23], 0 offen lds               // 000000004964: E0511000 80050048
	s_add_u32 m0, 0xb00, s48                                   // 00000000496C: 807C30FF 00000B00
	buffer_load_dword v73, s[20:23], 0 offen lds               // 000000004974: E0511000 80050049
	s_add_u32 m0, 0xc00, s48                                   // 00000000497C: 807C30FF 00000C00
	buffer_load_dword v74, s[20:23], 0 offen lds               // 000000004984: E0511000 8005004A
	s_add_u32 m0, 0xd00, s48                                   // 00000000498C: 807C30FF 00000D00
	buffer_load_dword v75, s[20:23], 0 offen lds               // 000000004994: E0511000 8005004B
	s_add_u32 m0, 0xe00, s48                                   // 00000000499C: 807C30FF 00000E00
	buffer_load_dword v76, s[20:23], 0 offen lds               // 0000000049A4: E0511000 8005004C
	s_add_u32 m0, 0xf00, s48                                   // 0000000049AC: 807C30FF 00000F00
	buffer_load_dword v77, s[20:23], 0 offen lds               // 0000000049B4: E0511000 8005004D
	s_add_u32 m0, 0, s49                                       // 0000000049BC: 807C3180
	s_waitcnt vmcnt(18)                                        // 0000000049C0: BF8C4F72
	s_barrier                                                  // 0000000049C4: BF8A0000
	v_mfma_f32_16x16x32_fp8_fp8 v[112:115], a[128:129], a[0:1], v[112:115]// 0000000049C8: D3F30070 1DC20180
	v_mfma_f32_16x16x32_fp8_fp8 v[112:115], a[130:131], a[2:3], v[112:115]// 0000000049D0: D3F30070 1DC20582
	buffer_load_dwordx4 a[144:147], v78, s[84:87], 0 offen     // 0000000049D8: E05C1000 8095904E
	v_mfma_f32_16x16x32_fp8_fp8 v[112:115], a[132:133], a[4:5], v[112:115]// 0000000049E0: D3F30070 1DC20984
	v_mfma_f32_16x16x32_fp8_fp8 v[112:115], a[134:135], a[6:7], v[112:115]// 0000000049E8: D3F30070 1DC20D86
	ds_read_b128 a[64:67], v2 offset:33024                     // 0000000049F0: DBFE8100 40000002
	ds_read_b128 a[68:71], v2 offset:33088                     // 0000000049F8: DBFE8140 44000002
	v_mfma_f32_16x16x32_fp8_fp8 v[116:119], a[128:129], a[8:9], v[116:119]// 000000004A00: D3F30074 1DD21180
	v_mfma_f32_16x16x32_fp8_fp8 v[116:119], a[130:131], a[10:11], v[116:119]// 000000004A08: D3F30074 1DD21582
	buffer_load_dwordx4 a[148:151], v78, s[84:87], 0 offen offset:1024// 000000004A10: E05C1400 8095944E
	v_mfma_f32_16x16x32_fp8_fp8 v[116:119], a[132:133], a[12:13], v[116:119]// 000000004A18: D3F30074 1DD21984
	v_mfma_f32_16x16x32_fp8_fp8 v[116:119], a[134:135], a[14:15], v[116:119]// 000000004A20: D3F30074 1DD21D86
	ds_read_b128 a[72:75], v2 offset:33536                     // 000000004A28: DBFE8300 48000002
	ds_read_b128 a[76:79], v2 offset:33600                     // 000000004A30: DBFE8340 4C000002
	v_mfma_f32_16x16x32_fp8_fp8 v[120:123], a[128:129], a[16:17], v[120:123]// 000000004A38: D3F30078 1DE22180
	v_mfma_f32_16x16x32_fp8_fp8 v[120:123], a[130:131], a[18:19], v[120:123]// 000000004A40: D3F30078 1DE22582
	v_mfma_f32_16x16x32_fp8_fp8 v[120:123], a[132:133], a[20:21], v[120:123]// 000000004A48: D3F30078 1DE22984
	v_mfma_f32_16x16x32_fp8_fp8 v[120:123], a[134:135], a[22:23], v[120:123]// 000000004A50: D3F30078 1DE22D86
	ds_read_b128 a[80:83], v2 offset:34048                     // 000000004A58: DBFE8500 50000002
	ds_read_b128 a[84:87], v2 offset:34112                     // 000000004A60: DBFE8540 54000002
	v_mfma_f32_16x16x32_fp8_fp8 v[124:127], a[128:129], a[24:25], v[124:127]// 000000004A68: D3F3007C 1DF23180
	v_mfma_f32_16x16x32_fp8_fp8 v[124:127], a[130:131], a[26:27], v[124:127]// 000000004A70: D3F3007C 1DF23582
	v_mfma_f32_16x16x32_fp8_fp8 v[124:127], a[132:133], a[28:29], v[124:127]// 000000004A78: D3F3007C 1DF23984
	v_mfma_f32_16x16x32_fp8_fp8 v[124:127], a[134:135], a[30:31], v[124:127]// 000000004A80: D3F3007C 1DF23D86
	ds_read_b128 a[88:91], v2 offset:34560                     // 000000004A88: DBFE8700 58000002
	ds_read_b128 a[92:95], v2 offset:34624                     // 000000004A90: DBFE8740 5C000002
	v_mfma_f32_16x16x32_fp8_fp8 v[128:131], a[128:129], a[32:33], v[128:131]// 000000004A98: D3F30080 1E024180
	v_mfma_f32_16x16x32_fp8_fp8 v[128:131], a[130:131], a[34:35], v[128:131]// 000000004AA0: D3F30080 1E024582
	v_mfma_f32_16x16x32_fp8_fp8 v[128:131], a[132:133], a[36:37], v[128:131]// 000000004AA8: D3F30080 1E024984
	v_mfma_f32_16x16x32_fp8_fp8 v[128:131], a[134:135], a[38:39], v[128:131]// 000000004AB0: D3F30080 1E024D86
	ds_read_b128 a[96:99], v2 offset:35072                     // 000000004AB8: DBFE8900 60000002
	ds_read_b128 a[100:103], v2 offset:35136                   // 000000004AC0: DBFE8940 64000002
	v_mfma_f32_16x16x32_fp8_fp8 v[132:135], a[128:129], a[40:41], v[132:135]// 000000004AC8: D3F30084 1E125180
	v_mfma_f32_16x16x32_fp8_fp8 v[132:135], a[130:131], a[42:43], v[132:135]// 000000004AD0: D3F30084 1E125582
	v_mfma_f32_16x16x32_fp8_fp8 v[132:135], a[132:133], a[44:45], v[132:135]// 000000004AD8: D3F30084 1E125984
	v_mfma_f32_16x16x32_fp8_fp8 v[132:135], a[134:135], a[46:47], v[132:135]// 000000004AE0: D3F30084 1E125D86
	ds_read_b128 a[104:107], v2 offset:35584                   // 000000004AE8: DBFE8B00 68000002
	ds_read_b128 a[108:111], v2 offset:35648                   // 000000004AF0: DBFE8B40 6C000002
	v_mfma_f32_16x16x32_fp8_fp8 v[136:139], a[128:129], a[48:49], v[136:139]// 000000004AF8: D3F30088 1E226180
	s_add_u32 s60, 0x180, s80                                  // 000000004B00: 803C50FF 00000180
	s_cmp_lt_u32 s60, s81                                      // 000000004B08: BF0A513C
	s_cselect_b32 s57, s57, 0                                  // 000000004B0C: 85398039
	v_mfma_f32_16x16x32_fp8_fp8 v[136:139], a[130:131], a[50:51], v[136:139]// 000000004B10: D3F30088 1E226582
	s_add_u32 s60, 0x100, s80                                  // 000000004B18: 803C50FF 00000100
	s_cmp_lt_u32 s60, s81                                      // 000000004B20: BF0A513C
	s_cselect_b32 s58, s58, 0                                  // 000000004B24: 853A803A
	v_mfma_f32_16x16x32_fp8_fp8 v[136:139], a[132:133], a[52:53], v[136:139]// 000000004B28: D3F30088 1E226984
	s_add_u32 s60, 0x100, s80                                  // 000000004B30: 803C50FF 00000100
	s_cmp_lt_u32 s60, s81                                      // 000000004B38: BF0A513C
	s_cselect_b32 s83, s83, 0                                  // 000000004B3C: 85538053
	v_mfma_f32_16x16x32_fp8_fp8 v[136:139], a[134:135], a[54:55], v[136:139]// 000000004B40: D3F30088 1E226D86
	ds_read_b128 a[112:115], v2 offset:36096                   // 000000004B48: DBFE8D00 70000002
	ds_read_b128 a[116:119], v2 offset:36160                   // 000000004B50: DBFE8D40 74000002
	s_add_u32 s24, s58, s24                                    // 000000004B58: 8018183A
	s_addc_u32 s25, 0, s25                                     // 000000004B5C: 82191980
	v_mfma_f32_16x16x32_fp8_fp8 v[140:143], a[128:129], a[56:57], v[140:143]// 000000004B60: D3F3008C 1E327180
	s_add_u32 s20, s57, s20                                    // 000000004B68: 80141439
	s_addc_u32 s21, 0, s21                                     // 000000004B6C: 82151580
	v_mfma_f32_16x16x32_fp8_fp8 v[140:143], a[130:131], a[58:59], v[140:143]// 000000004B70: D3F3008C 1E327582
	s_add_u32 s84, s83, s84                                    // 000000004B78: 80545453
	s_addc_u32 s85, 0, s85                                     // 000000004B7C: 82555580
	v_mfma_f32_16x16x32_fp8_fp8 v[140:143], a[132:133], a[60:61], v[140:143]// 000000004B80: D3F3008C 1E327984
	v_mfma_f32_16x16x32_fp8_fp8 v[140:143], a[134:135], a[62:63], v[140:143]// 000000004B88: D3F3008C 1E327D86
	ds_read_b128 a[120:123], v2 offset:36608                   // 000000004B90: DBFE8F00 78000002
	ds_read_b128 a[124:127], v2 offset:36672                   // 000000004B98: DBFE8F40 7C000002
	s_addk_i32 s80, 0x80                                       // 000000004BA0: B7500080
	s_cmp_lt_i32 s80, s81                                      // 000000004BA4: BF045150
	s_cbranch_scc0 label_096B                                  // 000000004BA8: BF840100
	s_waitcnt vmcnt(18) lgkmcnt(0)                             // 000000004BAC: BF8C4072
	v_mfma_f32_16x16x32_fp8_fp8 v[80:83], a[136:137], a[64:65], v[80:83]// 000000004BB0: D3F30050 1D428188
	v_mfma_f32_16x16x32_fp8_fp8 v[80:83], a[138:139], a[66:67], v[80:83]// 000000004BB8: D3F30050 1D42858A
	buffer_load_dwordx4 a[128:131], v78, s[24:27], 0 offen     // 000000004BC0: E05C1000 8086804E
	v_mfma_f32_16x16x32_fp8_fp8 v[80:83], a[140:141], a[68:69], v[80:83]// 000000004BC8: D3F30050 1D42898C
	v_mfma_f32_16x16x32_fp8_fp8 v[80:83], a[142:143], a[70:71], v[80:83]// 000000004BD0: D3F30050 1D428D8E
	v_mfma_f32_16x16x32_fp8_fp8 v[84:87], a[136:137], a[72:73], v[84:87]// 000000004BD8: D3F30054 1D529188
	v_mfma_f32_16x16x32_fp8_fp8 v[84:87], a[138:139], a[74:75], v[84:87]// 000000004BE0: D3F30054 1D52958A
	buffer_load_dwordx4 a[132:135], v78, s[24:27], 0 offen offset:1024// 000000004BE8: E05C1400 8086844E
	buffer_load_dword v62, s[20:23], 0 offen lds               // 000000004BF0: E0511000 8005003E
	s_add_u32 m0, 0x100, s49                                   // 000000004BF8: 807C31FF 00000100
	v_mfma_f32_16x16x32_fp8_fp8 v[84:87], a[140:141], a[76:77], v[84:87]// 000000004C00: D3F30054 1D52998C
	v_mfma_f32_16x16x32_fp8_fp8 v[84:87], a[142:143], a[78:79], v[84:87]// 000000004C08: D3F30054 1D529D8E
	buffer_load_dword v63, s[20:23], 0 offen lds               // 000000004C10: E0511000 8005003F
	s_add_u32 m0, 0x200, s49                                   // 000000004C18: 807C31FF 00000200
	v_mfma_f32_16x16x32_fp8_fp8 v[88:91], a[136:137], a[80:81], v[88:91]// 000000004C20: D3F30058 1D62A188
	v_mfma_f32_16x16x32_fp8_fp8 v[88:91], a[138:139], a[82:83], v[88:91]// 000000004C28: D3F30058 1D62A58A
	buffer_load_dword v64, s[20:23], 0 offen lds               // 000000004C30: E0511000 80050040
	s_add_u32 m0, 0x300, s49                                   // 000000004C38: 807C31FF 00000300
	v_mfma_f32_16x16x32_fp8_fp8 v[88:91], a[140:141], a[84:85], v[88:91]// 000000004C40: D3F30058 1D62A98C
	v_mfma_f32_16x16x32_fp8_fp8 v[88:91], a[142:143], a[86:87], v[88:91]// 000000004C48: D3F30058 1D62AD8E
	buffer_load_dword v65, s[20:23], 0 offen lds               // 000000004C50: E0511000 80050041
	s_add_u32 m0, 0x400, s49                                   // 000000004C58: 807C31FF 00000400
	v_mfma_f32_16x16x32_fp8_fp8 v[92:95], a[136:137], a[88:89], v[92:95]// 000000004C60: D3F3005C 1D72B188
	v_mfma_f32_16x16x32_fp8_fp8 v[92:95], a[138:139], a[90:91], v[92:95]// 000000004C68: D3F3005C 1D72B58A
	buffer_load_dword v66, s[20:23], 0 offen lds               // 000000004C70: E0511000 80050042
	s_add_u32 m0, 0x500, s49                                   // 000000004C78: 807C31FF 00000500
	v_mfma_f32_16x16x32_fp8_fp8 v[92:95], a[140:141], a[92:93], v[92:95]// 000000004C80: D3F3005C 1D72B98C
	v_mfma_f32_16x16x32_fp8_fp8 v[92:95], a[142:143], a[94:95], v[92:95]// 000000004C88: D3F3005C 1D72BD8E
	buffer_load_dword v67, s[20:23], 0 offen lds               // 000000004C90: E0511000 80050043
	s_add_u32 m0, 0x600, s49                                   // 000000004C98: 807C31FF 00000600
	v_mfma_f32_16x16x32_fp8_fp8 v[96:99], a[136:137], a[96:97], v[96:99]// 000000004CA0: D3F30060 1D82C188
	v_mfma_f32_16x16x32_fp8_fp8 v[96:99], a[138:139], a[98:99], v[96:99]// 000000004CA8: D3F30060 1D82C58A
	v_mfma_f32_16x16x32_fp8_fp8 v[96:99], a[140:141], a[100:101], v[96:99]// 000000004CB0: D3F30060 1D82C98C
	v_mfma_f32_16x16x32_fp8_fp8 v[96:99], a[142:143], a[102:103], v[96:99]// 000000004CB8: D3F30060 1D82CD8E
	v_mfma_f32_16x16x32_fp8_fp8 v[100:103], a[136:137], a[104:105], v[100:103]// 000000004CC0: D3F30064 1D92D188
	v_mfma_f32_16x16x32_fp8_fp8 v[100:103], a[138:139], a[106:107], v[100:103]// 000000004CC8: D3F30064 1D92D58A
	buffer_load_dword v68, s[20:23], 0 offen lds               // 000000004CD0: E0511000 80050044
	s_add_u32 m0, 0x700, s49                                   // 000000004CD8: 807C31FF 00000700
	v_mfma_f32_16x16x32_fp8_fp8 v[100:103], a[140:141], a[108:109], v[100:103]// 000000004CE0: D3F30064 1D92D98C
	v_mfma_f32_16x16x32_fp8_fp8 v[100:103], a[142:143], a[110:111], v[100:103]// 000000004CE8: D3F30064 1D92DD8E
	buffer_load_dword v69, s[20:23], 0 offen lds               // 000000004CF0: E0511000 80050045
	s_add_u32 m0, 0x800, s49                                   // 000000004CF8: 807C31FF 00000800
	v_mfma_f32_16x16x32_fp8_fp8 v[104:107], a[136:137], a[112:113], v[104:107]// 000000004D00: D3F30068 1DA2E188
	v_mfma_f32_16x16x32_fp8_fp8 v[104:107], a[138:139], a[114:115], v[104:107]// 000000004D08: D3F30068 1DA2E58A
	v_mfma_f32_16x16x32_fp8_fp8 v[104:107], a[140:141], a[116:117], v[104:107]// 000000004D10: D3F30068 1DA2E98C
	v_mfma_f32_16x16x32_fp8_fp8 v[104:107], a[142:143], a[118:119], v[104:107]// 000000004D18: D3F30068 1DA2ED8E
	v_mfma_f32_16x16x32_fp8_fp8 v[108:111], a[136:137], a[120:121], v[108:111]// 000000004D20: D3F3006C 1DB2F188
	v_mfma_f32_16x16x32_fp8_fp8 v[108:111], a[138:139], a[122:123], v[108:111]// 000000004D28: D3F3006C 1DB2F58A
	buffer_load_dword v70, s[20:23], 0 offen lds               // 000000004D30: E0511000 80050046
	s_add_u32 m0, 0x900, s49                                   // 000000004D38: 807C31FF 00000900
	v_mfma_f32_16x16x32_fp8_fp8 v[108:111], a[140:141], a[124:125], v[108:111]// 000000004D40: D3F3006C 1DB2F98C
	v_mfma_f32_16x16x32_fp8_fp8 v[108:111], a[142:143], a[126:127], v[108:111]// 000000004D48: D3F3006C 1DB2FD8E
	buffer_load_dword v71, s[20:23], 0 offen lds               // 000000004D50: E0511000 80050047
	s_add_u32 m0, 0xa00, s49                                   // 000000004D58: 807C31FF 00000A00
	buffer_load_dword v72, s[20:23], 0 offen lds               // 000000004D60: E0511000 80050048
	s_add_u32 m0, 0xb00, s49                                   // 000000004D68: 807C31FF 00000B00
	buffer_load_dword v73, s[20:23], 0 offen lds               // 000000004D70: E0511000 80050049
	s_add_u32 m0, 0xc00, s49                                   // 000000004D78: 807C31FF 00000C00
	buffer_load_dword v74, s[20:23], 0 offen lds               // 000000004D80: E0511000 8005004A
	s_add_u32 m0, 0xd00, s49                                   // 000000004D88: 807C31FF 00000D00
	buffer_load_dword v75, s[20:23], 0 offen lds               // 000000004D90: E0511000 8005004B
	s_add_u32 m0, 0xe00, s49                                   // 000000004D98: 807C31FF 00000E00
	buffer_load_dword v76, s[20:23], 0 offen lds               // 000000004DA0: E0511000 8005004C
	s_add_u32 m0, 0xf00, s49                                   // 000000004DA8: 807C31FF 00000F00
	buffer_load_dword v77, s[20:23], 0 offen lds               // 000000004DB0: E0511000 8005004D
	s_add_u32 m0, 0, s50                                       // 000000004DB8: 807C3280
	s_waitcnt vmcnt(18)                                        // 000000004DBC: BF8C4F72
	s_barrier                                                  // 000000004DC0: BF8A0000
	v_mfma_f32_16x16x32_fp8_fp8 v[112:115], a[144:145], a[64:65], v[112:115]// 000000004DC4: D3F30070 1DC28190
	v_mfma_f32_16x16x32_fp8_fp8 v[112:115], a[146:147], a[66:67], v[112:115]// 000000004DCC: D3F30070 1DC28592
	buffer_load_dwordx4 a[136:139], v78, s[84:87], 0 offen     // 000000004DD4: E05C1000 8095884E
	v_mfma_f32_16x16x32_fp8_fp8 v[112:115], a[148:149], a[68:69], v[112:115]// 000000004DDC: D3F30070 1DC28994
	v_mfma_f32_16x16x32_fp8_fp8 v[112:115], a[150:151], a[70:71], v[112:115]// 000000004DE4: D3F30070 1DC28D96
	ds_read_b128 a[0:3], v2                                    // 000000004DEC: DBFE0000 00000002
	ds_read_b128 a[4:7], v2 offset:64                          // 000000004DF4: DBFE0040 04000002
	v_mfma_f32_16x16x32_fp8_fp8 v[116:119], a[144:145], a[72:73], v[116:119]// 000000004DFC: D3F30074 1DD29190
	v_mfma_f32_16x16x32_fp8_fp8 v[116:119], a[146:147], a[74:75], v[116:119]// 000000004E04: D3F30074 1DD29592
	buffer_load_dwordx4 a[140:143], v78, s[84:87], 0 offen offset:1024// 000000004E0C: E05C1400 80958C4E
	v_mfma_f32_16x16x32_fp8_fp8 v[116:119], a[148:149], a[76:77], v[116:119]// 000000004E14: D3F30074 1DD29994
	v_mfma_f32_16x16x32_fp8_fp8 v[116:119], a[150:151], a[78:79], v[116:119]// 000000004E1C: D3F30074 1DD29D96
	ds_read_b128 a[8:11], v2 offset:512                        // 000000004E24: DBFE0200 08000002
	ds_read_b128 a[12:15], v2 offset:576                       // 000000004E2C: DBFE0240 0C000002
	v_mfma_f32_16x16x32_fp8_fp8 v[120:123], a[144:145], a[80:81], v[120:123]// 000000004E34: D3F30078 1DE2A190
	v_mfma_f32_16x16x32_fp8_fp8 v[120:123], a[146:147], a[82:83], v[120:123]// 000000004E3C: D3F30078 1DE2A592
	v_mfma_f32_16x16x32_fp8_fp8 v[120:123], a[148:149], a[84:85], v[120:123]// 000000004E44: D3F30078 1DE2A994
	v_mfma_f32_16x16x32_fp8_fp8 v[120:123], a[150:151], a[86:87], v[120:123]// 000000004E4C: D3F30078 1DE2AD96
	ds_read_b128 a[16:19], v2 offset:1024                      // 000000004E54: DBFE0400 10000002
	ds_read_b128 a[20:23], v2 offset:1088                      // 000000004E5C: DBFE0440 14000002
	v_mfma_f32_16x16x32_fp8_fp8 v[124:127], a[144:145], a[88:89], v[124:127]// 000000004E64: D3F3007C 1DF2B190
	v_mfma_f32_16x16x32_fp8_fp8 v[124:127], a[146:147], a[90:91], v[124:127]// 000000004E6C: D3F3007C 1DF2B592
	v_mfma_f32_16x16x32_fp8_fp8 v[124:127], a[148:149], a[92:93], v[124:127]// 000000004E74: D3F3007C 1DF2B994
	v_mfma_f32_16x16x32_fp8_fp8 v[124:127], a[150:151], a[94:95], v[124:127]// 000000004E7C: D3F3007C 1DF2BD96
	ds_read_b128 a[24:27], v2 offset:1536                      // 000000004E84: DBFE0600 18000002
	ds_read_b128 a[28:31], v2 offset:1600                      // 000000004E8C: DBFE0640 1C000002
	v_mfma_f32_16x16x32_fp8_fp8 v[128:131], a[144:145], a[96:97], v[128:131]// 000000004E94: D3F30080 1E02C190
	v_mfma_f32_16x16x32_fp8_fp8 v[128:131], a[146:147], a[98:99], v[128:131]// 000000004E9C: D3F30080 1E02C592
	v_mfma_f32_16x16x32_fp8_fp8 v[128:131], a[148:149], a[100:101], v[128:131]// 000000004EA4: D3F30080 1E02C994
	v_mfma_f32_16x16x32_fp8_fp8 v[128:131], a[150:151], a[102:103], v[128:131]// 000000004EAC: D3F30080 1E02CD96
	ds_read_b128 a[32:35], v2 offset:2048                      // 000000004EB4: DBFE0800 20000002
	ds_read_b128 a[36:39], v2 offset:2112                      // 000000004EBC: DBFE0840 24000002
	v_mfma_f32_16x16x32_fp8_fp8 v[132:135], a[144:145], a[104:105], v[132:135]// 000000004EC4: D3F30084 1E12D190
	v_mfma_f32_16x16x32_fp8_fp8 v[132:135], a[146:147], a[106:107], v[132:135]// 000000004ECC: D3F30084 1E12D592
	v_mfma_f32_16x16x32_fp8_fp8 v[132:135], a[148:149], a[108:109], v[132:135]// 000000004ED4: D3F30084 1E12D994
	v_mfma_f32_16x16x32_fp8_fp8 v[132:135], a[150:151], a[110:111], v[132:135]// 000000004EDC: D3F30084 1E12DD96
	ds_read_b128 a[40:43], v2 offset:2560                      // 000000004EE4: DBFE0A00 28000002
	ds_read_b128 a[44:47], v2 offset:2624                      // 000000004EEC: DBFE0A40 2C000002
	v_mfma_f32_16x16x32_fp8_fp8 v[136:139], a[144:145], a[112:113], v[136:139]// 000000004EF4: D3F30088 1E22E190
	s_add_u32 s60, 0x180, s80                                  // 000000004EFC: 803C50FF 00000180
	s_cmp_lt_u32 s60, s81                                      // 000000004F04: BF0A513C
	s_cselect_b32 s57, s57, 0                                  // 000000004F08: 85398039
	v_mfma_f32_16x16x32_fp8_fp8 v[136:139], a[146:147], a[114:115], v[136:139]// 000000004F0C: D3F30088 1E22E592
	s_add_u32 s60, 0x100, s80                                  // 000000004F14: 803C50FF 00000100
	s_cmp_lt_u32 s60, s81                                      // 000000004F1C: BF0A513C
	s_cselect_b32 s58, s58, 0                                  // 000000004F20: 853A803A
	v_mfma_f32_16x16x32_fp8_fp8 v[136:139], a[148:149], a[116:117], v[136:139]// 000000004F24: D3F30088 1E22E994
	s_add_u32 s60, 0x100, s80                                  // 000000004F2C: 803C50FF 00000100
	s_cmp_lt_u32 s60, s81                                      // 000000004F34: BF0A513C
	s_cselect_b32 s83, s83, 0                                  // 000000004F38: 85538053
	v_mfma_f32_16x16x32_fp8_fp8 v[136:139], a[150:151], a[118:119], v[136:139]// 000000004F3C: D3F30088 1E22ED96
	ds_read_b128 a[48:51], v2 offset:3072                      // 000000004F44: DBFE0C00 30000002
	ds_read_b128 a[52:55], v2 offset:3136                      // 000000004F4C: DBFE0C40 34000002
	s_add_u32 s24, s58, s24                                    // 000000004F54: 8018183A
	s_addc_u32 s25, 0, s25                                     // 000000004F58: 82191980
	v_mfma_f32_16x16x32_fp8_fp8 v[140:143], a[144:145], a[120:121], v[140:143]// 000000004F5C: D3F3008C 1E32F190
	s_add_u32 s20, s57, s20                                    // 000000004F64: 80141439
	s_addc_u32 s21, 0, s21                                     // 000000004F68: 82151580
	v_mfma_f32_16x16x32_fp8_fp8 v[140:143], a[146:147], a[122:123], v[140:143]// 000000004F6C: D3F3008C 1E32F592
	s_add_u32 s84, s83, s84                                    // 000000004F74: 80545453
	s_addc_u32 s85, 0, s85                                     // 000000004F78: 82555580
	v_mfma_f32_16x16x32_fp8_fp8 v[140:143], a[148:149], a[124:125], v[140:143]// 000000004F7C: D3F3008C 1E32F994
	v_mfma_f32_16x16x32_fp8_fp8 v[140:143], a[150:151], a[126:127], v[140:143]// 000000004F84: D3F3008C 1E32FD96
	ds_read_b128 a[56:59], v2 offset:3584                      // 000000004F8C: DBFE0E00 38000002
	ds_read_b128 a[60:63], v2 offset:3648                      // 000000004F94: DBFE0E40 3C000002
	s_addk_i32 s80, 0x80                                       // 000000004F9C: B7500080
	s_cmp_lt_i32 s80, s81                                      // 000000004FA0: BF045150
	s_cbranch_scc0 label_096B                                  // 000000004FA4: BF840001
	s_branch label_0370                                        // 000000004FA8: BF82FA05

0000000000004fac <label_096B>:
	v_mul_f32_dpp v80, v24, v80 row_newbcast:0 row_mask:0xf bank_mask:0xf// 000000004FAC: 0AA0A0FA FF015018
	v_mul_f32_dpp v81, v24, v81 row_newbcast:1 row_mask:0xf bank_mask:0xf// 000000004FB4: 0AA2A2FA FF015118
	v_mul_f32_dpp v82, v24, v82 row_newbcast:2 row_mask:0xf bank_mask:0xf// 000000004FBC: 0AA4A4FA FF015218
	v_mul_f32_dpp v83, v24, v83 row_newbcast:3 row_mask:0xf bank_mask:0xf// 000000004FC4: 0AA6A6FA FF015318
	v_mul_f32_dpp v84, v24, v84 row_newbcast:0 row_mask:0xf bank_mask:0xf// 000000004FCC: 0AA8A8FA FF015018
	v_mul_f32_dpp v85, v24, v85 row_newbcast:1 row_mask:0xf bank_mask:0xf// 000000004FD4: 0AAAAAFA FF015118
	v_mul_f32_dpp v86, v24, v86 row_newbcast:2 row_mask:0xf bank_mask:0xf// 000000004FDC: 0AACACFA FF015218
	v_mul_f32_dpp v87, v24, v87 row_newbcast:3 row_mask:0xf bank_mask:0xf// 000000004FE4: 0AAEAEFA FF015318
	v_mul_f32_dpp v88, v24, v88 row_newbcast:0 row_mask:0xf bank_mask:0xf// 000000004FEC: 0AB0B0FA FF015018
	v_mul_f32_dpp v89, v24, v89 row_newbcast:1 row_mask:0xf bank_mask:0xf// 000000004FF4: 0AB2B2FA FF015118
	v_mul_f32_dpp v90, v24, v90 row_newbcast:2 row_mask:0xf bank_mask:0xf// 000000004FFC: 0AB4B4FA FF015218
	v_mul_f32_dpp v91, v24, v91 row_newbcast:3 row_mask:0xf bank_mask:0xf// 000000005004: 0AB6B6FA FF015318
	v_mul_f32_dpp v92, v24, v92 row_newbcast:0 row_mask:0xf bank_mask:0xf// 00000000500C: 0AB8B8FA FF015018
	v_mul_f32_dpp v93, v24, v93 row_newbcast:1 row_mask:0xf bank_mask:0xf// 000000005014: 0ABABAFA FF015118
	v_mul_f32_dpp v94, v24, v94 row_newbcast:2 row_mask:0xf bank_mask:0xf// 00000000501C: 0ABCBCFA FF015218
	v_mul_f32_dpp v95, v24, v95 row_newbcast:3 row_mask:0xf bank_mask:0xf// 000000005024: 0ABEBEFA FF015318
	v_mul_f32_dpp v96, v24, v96 row_newbcast:0 row_mask:0xf bank_mask:0xf// 00000000502C: 0AC0C0FA FF015018
	v_mul_f32_dpp v97, v24, v97 row_newbcast:1 row_mask:0xf bank_mask:0xf// 000000005034: 0AC2C2FA FF015118
	v_mul_f32_dpp v98, v24, v98 row_newbcast:2 row_mask:0xf bank_mask:0xf// 00000000503C: 0AC4C4FA FF015218
	v_mul_f32_dpp v99, v24, v99 row_newbcast:3 row_mask:0xf bank_mask:0xf// 000000005044: 0AC6C6FA FF015318
	v_mul_f32_dpp v100, v24, v100 row_newbcast:0 row_mask:0xf bank_mask:0xf// 00000000504C: 0AC8C8FA FF015018
	v_mul_f32_dpp v101, v24, v101 row_newbcast:1 row_mask:0xf bank_mask:0xf// 000000005054: 0ACACAFA FF015118
	v_mul_f32_dpp v102, v24, v102 row_newbcast:2 row_mask:0xf bank_mask:0xf// 00000000505C: 0ACCCCFA FF015218
	v_mul_f32_dpp v103, v24, v103 row_newbcast:3 row_mask:0xf bank_mask:0xf// 000000005064: 0ACECEFA FF015318
	v_mul_f32_dpp v104, v24, v104 row_newbcast:0 row_mask:0xf bank_mask:0xf// 00000000506C: 0AD0D0FA FF015018
	v_mul_f32_dpp v105, v24, v105 row_newbcast:1 row_mask:0xf bank_mask:0xf// 000000005074: 0AD2D2FA FF015118
	v_mul_f32_dpp v106, v24, v106 row_newbcast:2 row_mask:0xf bank_mask:0xf// 00000000507C: 0AD4D4FA FF015218
	v_mul_f32_dpp v107, v24, v107 row_newbcast:3 row_mask:0xf bank_mask:0xf// 000000005084: 0AD6D6FA FF015318
	v_mul_f32_dpp v108, v24, v108 row_newbcast:0 row_mask:0xf bank_mask:0xf// 00000000508C: 0AD8D8FA FF015018
	v_mul_f32_dpp v109, v24, v109 row_newbcast:1 row_mask:0xf bank_mask:0xf// 000000005094: 0ADADAFA FF015118
	v_mul_f32_dpp v110, v24, v110 row_newbcast:2 row_mask:0xf bank_mask:0xf// 00000000509C: 0ADCDCFA FF015218
	v_mul_f32_dpp v111, v24, v111 row_newbcast:3 row_mask:0xf bank_mask:0xf// 0000000050A4: 0ADEDEFA FF015318
	v_mul_f32_dpp v112, v27, v112 row_newbcast:0 row_mask:0xf bank_mask:0xf// 0000000050AC: 0AE0E0FA FF01501B
	v_mul_f32_dpp v113, v27, v113 row_newbcast:1 row_mask:0xf bank_mask:0xf// 0000000050B4: 0AE2E2FA FF01511B
	v_mul_f32_dpp v114, v27, v114 row_newbcast:2 row_mask:0xf bank_mask:0xf// 0000000050BC: 0AE4E4FA FF01521B
	v_mul_f32_dpp v115, v27, v115 row_newbcast:3 row_mask:0xf bank_mask:0xf// 0000000050C4: 0AE6E6FA FF01531B
	v_mul_f32_dpp v116, v27, v116 row_newbcast:0 row_mask:0xf bank_mask:0xf// 0000000050CC: 0AE8E8FA FF01501B
	v_mul_f32_dpp v117, v27, v117 row_newbcast:1 row_mask:0xf bank_mask:0xf// 0000000050D4: 0AEAEAFA FF01511B
	v_mul_f32_dpp v118, v27, v118 row_newbcast:2 row_mask:0xf bank_mask:0xf// 0000000050DC: 0AECECFA FF01521B
	v_mul_f32_dpp v119, v27, v119 row_newbcast:3 row_mask:0xf bank_mask:0xf// 0000000050E4: 0AEEEEFA FF01531B
	v_mul_f32_dpp v120, v27, v120 row_newbcast:0 row_mask:0xf bank_mask:0xf// 0000000050EC: 0AF0F0FA FF01501B
	v_mul_f32_dpp v121, v27, v121 row_newbcast:1 row_mask:0xf bank_mask:0xf// 0000000050F4: 0AF2F2FA FF01511B
	v_mul_f32_dpp v122, v27, v122 row_newbcast:2 row_mask:0xf bank_mask:0xf// 0000000050FC: 0AF4F4FA FF01521B
	v_mul_f32_dpp v123, v27, v123 row_newbcast:3 row_mask:0xf bank_mask:0xf// 000000005104: 0AF6F6FA FF01531B
	v_mul_f32_dpp v124, v27, v124 row_newbcast:0 row_mask:0xf bank_mask:0xf// 00000000510C: 0AF8F8FA FF01501B
	v_mul_f32_dpp v125, v27, v125 row_newbcast:1 row_mask:0xf bank_mask:0xf// 000000005114: 0AFAFAFA FF01511B
	v_mul_f32_dpp v126, v27, v126 row_newbcast:2 row_mask:0xf bank_mask:0xf// 00000000511C: 0AFCFCFA FF01521B
	v_mul_f32_dpp v127, v27, v127 row_newbcast:3 row_mask:0xf bank_mask:0xf// 000000005124: 0AFEFEFA FF01531B
	v_mul_f32_dpp v128, v27, v128 row_newbcast:0 row_mask:0xf bank_mask:0xf// 00000000512C: 0B0100FA FF01501B
	v_mul_f32_dpp v129, v27, v129 row_newbcast:1 row_mask:0xf bank_mask:0xf// 000000005134: 0B0302FA FF01511B
	v_mul_f32_dpp v130, v27, v130 row_newbcast:2 row_mask:0xf bank_mask:0xf// 00000000513C: 0B0504FA FF01521B
	v_mul_f32_dpp v131, v27, v131 row_newbcast:3 row_mask:0xf bank_mask:0xf// 000000005144: 0B0706FA FF01531B
	v_mul_f32_dpp v132, v27, v132 row_newbcast:0 row_mask:0xf bank_mask:0xf// 00000000514C: 0B0908FA FF01501B
	v_mul_f32_dpp v133, v27, v133 row_newbcast:1 row_mask:0xf bank_mask:0xf// 000000005154: 0B0B0AFA FF01511B
	v_mul_f32_dpp v134, v27, v134 row_newbcast:2 row_mask:0xf bank_mask:0xf// 00000000515C: 0B0D0CFA FF01521B
	v_mul_f32_dpp v135, v27, v135 row_newbcast:3 row_mask:0xf bank_mask:0xf// 000000005164: 0B0F0EFA FF01531B
	v_mul_f32_dpp v136, v27, v136 row_newbcast:0 row_mask:0xf bank_mask:0xf// 00000000516C: 0B1110FA FF01501B
	v_mul_f32_dpp v137, v27, v137 row_newbcast:1 row_mask:0xf bank_mask:0xf// 000000005174: 0B1312FA FF01511B
	v_mul_f32_dpp v138, v27, v138 row_newbcast:2 row_mask:0xf bank_mask:0xf// 00000000517C: 0B1514FA FF01521B
	v_mul_f32_dpp v139, v27, v139 row_newbcast:3 row_mask:0xf bank_mask:0xf// 000000005184: 0B1716FA FF01531B
	v_mul_f32_dpp v140, v27, v140 row_newbcast:0 row_mask:0xf bank_mask:0xf// 00000000518C: 0B1918FA FF01501B
	v_mul_f32_dpp v141, v27, v141 row_newbcast:1 row_mask:0xf bank_mask:0xf// 000000005194: 0B1B1AFA FF01511B
	v_mul_f32_dpp v142, v27, v142 row_newbcast:2 row_mask:0xf bank_mask:0xf// 00000000519C: 0B1D1CFA FF01521B
	v_mul_f32_dpp v143, v27, v143 row_newbcast:3 row_mask:0xf bank_mask:0xf// 0000000051A4: 0B1F1EFA FF01531B
	v_mul_f32_e32 v38, v38, v144                               // 0000000051AC: 0A4D2126
	v_mov_b32_e32 v4, v38                                      // 0000000051B0: 7E080326
	v_mov_b32_e32 v5, v4                                       // 0000000051B4: 7E0A0304
	v_pk_mul_f32 v[80:81], v[4:5], v[80:81]                    // 0000000051B8: D3B14050 1802A104
	v_pk_mul_f32 v[112:113], v[4:5], v[112:113]                // 0000000051C0: D3B14070 1802E104
	v_pk_mul_f32 v[82:83], v[4:5], v[82:83]                    // 0000000051C8: D3B14052 1802A504
	v_pk_mul_f32 v[114:115], v[4:5], v[114:115]                // 0000000051D0: D3B14072 1802E504
	v_mul_f32_e32 v39, v39, v145                               // 0000000051D8: 0A4F2327
	v_mov_b32_e32 v4, v39                                      // 0000000051DC: 7E080327
	v_mov_b32_e32 v5, v4                                       // 0000000051E0: 7E0A0304
	v_pk_mul_f32 v[84:85], v[4:5], v[84:85]                    // 0000000051E4: D3B14054 1802A904
	v_pk_mul_f32 v[116:117], v[4:5], v[116:117]                // 0000000051EC: D3B14074 1802E904
	v_pk_mul_f32 v[86:87], v[4:5], v[86:87]                    // 0000000051F4: D3B14056 1802AD04
	v_pk_mul_f32 v[118:119], v[4:5], v[118:119]                // 0000000051FC: D3B14076 1802ED04
	v_mul_f32_e32 v40, v40, v146                               // 000000005204: 0A512528
	v_mov_b32_e32 v4, v40                                      // 000000005208: 7E080328
	v_mov_b32_e32 v5, v4                                       // 00000000520C: 7E0A0304
	v_pk_mul_f32 v[88:89], v[4:5], v[88:89]                    // 000000005210: D3B14058 1802B104
	v_pk_mul_f32 v[120:121], v[4:5], v[120:121]                // 000000005218: D3B14078 1802F104
	v_pk_mul_f32 v[90:91], v[4:5], v[90:91]                    // 000000005220: D3B1405A 1802B504
	v_pk_mul_f32 v[122:123], v[4:5], v[122:123]                // 000000005228: D3B1407A 1802F504
	v_mul_f32_e32 v41, v41, v147                               // 000000005230: 0A532729
	v_mov_b32_e32 v4, v41                                      // 000000005234: 7E080329
	v_mov_b32_e32 v5, v4                                       // 000000005238: 7E0A0304
	v_pk_mul_f32 v[92:93], v[4:5], v[92:93]                    // 00000000523C: D3B1405C 1802B904
	v_pk_mul_f32 v[124:125], v[4:5], v[124:125]                // 000000005244: D3B1407C 1802F904
	v_pk_mul_f32 v[94:95], v[4:5], v[94:95]                    // 00000000524C: D3B1405E 1802BD04
	v_pk_mul_f32 v[126:127], v[4:5], v[126:127]                // 000000005254: D3B1407E 1802FD04
	v_mul_f32_e32 v42, v42, v148                               // 00000000525C: 0A55292A
	v_mov_b32_e32 v4, v42                                      // 000000005260: 7E08032A
	v_mov_b32_e32 v5, v4                                       // 000000005264: 7E0A0304
	v_pk_mul_f32 v[96:97], v[4:5], v[96:97]                    // 000000005268: D3B14060 1802C104
	v_pk_mul_f32 v[128:129], v[4:5], v[128:129]                // 000000005270: D3B14080 18030104
	v_pk_mul_f32 v[98:99], v[4:5], v[98:99]                    // 000000005278: D3B14062 1802C504
	v_pk_mul_f32 v[130:131], v[4:5], v[130:131]                // 000000005280: D3B14082 18030504
	v_mul_f32_e32 v43, v43, v149                               // 000000005288: 0A572B2B
	v_mov_b32_e32 v4, v43                                      // 00000000528C: 7E08032B
	v_mov_b32_e32 v5, v4                                       // 000000005290: 7E0A0304
	v_pk_mul_f32 v[100:101], v[4:5], v[100:101]                // 000000005294: D3B14064 1802C904
	v_pk_mul_f32 v[132:133], v[4:5], v[132:133]                // 00000000529C: D3B14084 18030904
	v_pk_mul_f32 v[102:103], v[4:5], v[102:103]                // 0000000052A4: D3B14066 1802CD04
	v_pk_mul_f32 v[134:135], v[4:5], v[134:135]                // 0000000052AC: D3B14086 18030D04
	v_mul_f32_e32 v44, v44, v150                               // 0000000052B4: 0A592D2C
	v_mov_b32_e32 v4, v44                                      // 0000000052B8: 7E08032C
	v_mov_b32_e32 v5, v4                                       // 0000000052BC: 7E0A0304
	v_pk_mul_f32 v[104:105], v[4:5], v[104:105]                // 0000000052C0: D3B14068 1802D104
	v_pk_mul_f32 v[136:137], v[4:5], v[136:137]                // 0000000052C8: D3B14088 18031104
	v_pk_mul_f32 v[106:107], v[4:5], v[106:107]                // 0000000052D0: D3B1406A 1802D504
	v_pk_mul_f32 v[138:139], v[4:5], v[138:139]                // 0000000052D8: D3B1408A 18031504
	v_mul_f32_e32 v45, v45, v151                               // 0000000052E0: 0A5B2F2D
	v_mov_b32_e32 v4, v45                                      // 0000000052E4: 7E08032D
	v_mov_b32_e32 v5, v4                                       // 0000000052E8: 7E0A0304
	v_pk_mul_f32 v[108:109], v[4:5], v[108:109]                // 0000000052EC: D3B1406C 1802D904
	v_pk_mul_f32 v[140:141], v[4:5], v[140:141]                // 0000000052F4: D3B1408C 18031904
	v_pk_mul_f32 v[110:111], v[4:5], v[110:111]                // 0000000052FC: D3B1406E 1802DD04
	v_pk_mul_f32 v[142:143], v[4:5], v[142:143]                // 000000005304: D3B1408E 18031D04
	s_cmp_eq_u32 s88, 0                                        // 00000000530C: BF068058
	s_cbranch_scc0 label_1036                                  // 000000005310: BF8405F1
	s_cmp_eq_u32 s89, 0                                        // 000000005314: BF068059
	s_cbranch_scc1 label_0B8C                                  // 000000005318: BF850145
	v_mov_b32_e32 v8, v1                                       // 00000000531C: 7E100301
	v_mov_b32_e32 v9, v1                                       // 000000005320: 7E120301
	s_mov_b32 s60, s6                                          // 000000005324: BEBC0006
	s_mov_b32 s61, s6                                          // 000000005328: BEBD0006
	v_pk_mul_f32 v[4:5], v[80:81], v[80:81]                    // 00000000532C: D3B14004 1802A150
	v_pk_mul_f32 v[6:7], v[82:83], v[82:83]                    // 000000005334: D3B14006 1802A552
	v_pk_fma_f32 v[4:5], v[4:5], s[78:79], v[8:9]              // 00000000533C: D3B04004 1C209D04
	v_pk_fma_f32 v[6:7], v[6:7], s[78:79], v[8:9]              // 000000005344: D3B04006 1C209D06
	v_pk_mul_f32 v[4:5], v[4:5], v[80:81]                      // 00000000534C: D3B14004 1802A104
	v_pk_mul_f32 v[6:7], v[6:7], v[82:83]                      // 000000005354: D3B14006 1802A506
	v_pk_mul_f32 v[4:5], v[4:5], s[60:61]                      // 00000000535C: D3B14004 18007904
	v_pk_mul_f32 v[6:7], v[6:7], s[60:61]                      // 000000005364: D3B14006 18007906
	v_exp_f32_e32 v4, v4                                       // 00000000536C: 7E084104
	v_exp_f32_e32 v5, v5                                       // 000000005370: 7E0A4105
	v_exp_f32_e32 v6, v6                                       // 000000005374: 7E0C4106
	v_exp_f32_e32 v7, v7                                       // 000000005378: 7E0E4107
	v_add_f32_e64 v4, v4, 1.0                                  // 00000000537C: D1010004 0001E504
	v_add_f32_e64 v5, v5, 1.0                                  // 000000005384: D1010005 0001E505
	v_add_f32_e64 v6, v6, 1.0                                  // 00000000538C: D1010006 0001E506
	v_add_f32_e64 v7, v7, 1.0                                  // 000000005394: D1010007 0001E507
	v_rcp_f32_e32 v4, v4                                       // 00000000539C: 7E084504
	v_rcp_f32_e32 v5, v5                                       // 0000000053A0: 7E0A4505
	v_rcp_f32_e32 v6, v6                                       // 0000000053A4: 7E0C4506
	v_rcp_f32_e32 v7, v7                                       // 0000000053A8: 7E0E4507
	v_mul_f32_e32 v80, v80, v4                                 // 0000000053AC: 0AA00950
	v_mul_f32_e32 v81, v81, v5                                 // 0000000053B0: 0AA20B51
	v_mul_f32_e32 v82, v82, v6                                 // 0000000053B4: 0AA40D52
	v_mul_f32_e32 v83, v83, v7                                 // 0000000053B8: 0AA60F53
	v_mul_f32_e32 v80, v80, v112                               // 0000000053BC: 0AA0E150
	v_mul_f32_e32 v81, v81, v113                               // 0000000053C0: 0AA2E351
	v_mul_f32_e32 v82, v82, v114                               // 0000000053C4: 0AA4E552
	v_mul_f32_e32 v83, v83, v115                               // 0000000053C8: 0AA6E753
	v_pk_mul_f32 v[4:5], v[84:85], v[84:85]                    // 0000000053CC: D3B14004 1802A954
	v_pk_mul_f32 v[6:7], v[86:87], v[86:87]                    // 0000000053D4: D3B14006 1802AD56
	v_pk_fma_f32 v[4:5], v[4:5], s[78:79], v[8:9]              // 0000000053DC: D3B04004 1C209D04
	v_pk_fma_f32 v[6:7], v[6:7], s[78:79], v[8:9]              // 0000000053E4: D3B04006 1C209D06
	v_pk_mul_f32 v[4:5], v[4:5], v[84:85]                      // 0000000053EC: D3B14004 1802A904
	v_pk_mul_f32 v[6:7], v[6:7], v[86:87]                      // 0000000053F4: D3B14006 1802AD06
	v_pk_mul_f32 v[4:5], v[4:5], s[60:61]                      // 0000000053FC: D3B14004 18007904
	v_pk_mul_f32 v[6:7], v[6:7], s[60:61]                      // 000000005404: D3B14006 18007906
	v_exp_f32_e32 v4, v4                                       // 00000000540C: 7E084104
	v_exp_f32_e32 v5, v5                                       // 000000005410: 7E0A4105
	v_exp_f32_e32 v6, v6                                       // 000000005414: 7E0C4106
	v_exp_f32_e32 v7, v7                                       // 000000005418: 7E0E4107
	v_add_f32_e64 v4, v4, 1.0                                  // 00000000541C: D1010004 0001E504
	v_add_f32_e64 v5, v5, 1.0                                  // 000000005424: D1010005 0001E505
	v_add_f32_e64 v6, v6, 1.0                                  // 00000000542C: D1010006 0001E506
	v_add_f32_e64 v7, v7, 1.0                                  // 000000005434: D1010007 0001E507
	v_rcp_f32_e32 v4, v4                                       // 00000000543C: 7E084504
	v_rcp_f32_e32 v5, v5                                       // 000000005440: 7E0A4505
	v_rcp_f32_e32 v6, v6                                       // 000000005444: 7E0C4506
	v_rcp_f32_e32 v7, v7                                       // 000000005448: 7E0E4507
	v_mul_f32_e32 v84, v84, v4                                 // 00000000544C: 0AA80954
	v_mul_f32_e32 v85, v85, v5                                 // 000000005450: 0AAA0B55
	v_mul_f32_e32 v86, v86, v6                                 // 000000005454: 0AAC0D56
	v_mul_f32_e32 v87, v87, v7                                 // 000000005458: 0AAE0F57
	v_mul_f32_e32 v84, v84, v116                               // 00000000545C: 0AA8E954
	v_mul_f32_e32 v85, v85, v117                               // 000000005460: 0AAAEB55
	v_mul_f32_e32 v86, v86, v118                               // 000000005464: 0AACED56
	v_mul_f32_e32 v87, v87, v119                               // 000000005468: 0AAEEF57
	v_pk_mul_f32 v[4:5], v[88:89], v[88:89]                    // 00000000546C: D3B14004 1802B158
	v_pk_mul_f32 v[6:7], v[90:91], v[90:91]                    // 000000005474: D3B14006 1802B55A
	v_pk_fma_f32 v[4:5], v[4:5], s[78:79], v[8:9]              // 00000000547C: D3B04004 1C209D04
	v_pk_fma_f32 v[6:7], v[6:7], s[78:79], v[8:9]              // 000000005484: D3B04006 1C209D06
	v_pk_mul_f32 v[4:5], v[4:5], v[88:89]                      // 00000000548C: D3B14004 1802B104
	v_pk_mul_f32 v[6:7], v[6:7], v[90:91]                      // 000000005494: D3B14006 1802B506
	v_pk_mul_f32 v[4:5], v[4:5], s[60:61]                      // 00000000549C: D3B14004 18007904
	v_pk_mul_f32 v[6:7], v[6:7], s[60:61]                      // 0000000054A4: D3B14006 18007906
	v_exp_f32_e32 v4, v4                                       // 0000000054AC: 7E084104
	v_exp_f32_e32 v5, v5                                       // 0000000054B0: 7E0A4105
	v_exp_f32_e32 v6, v6                                       // 0000000054B4: 7E0C4106
	v_exp_f32_e32 v7, v7                                       // 0000000054B8: 7E0E4107
	v_add_f32_e64 v4, v4, 1.0                                  // 0000000054BC: D1010004 0001E504
	v_add_f32_e64 v5, v5, 1.0                                  // 0000000054C4: D1010005 0001E505
	v_add_f32_e64 v6, v6, 1.0                                  // 0000000054CC: D1010006 0001E506
	v_add_f32_e64 v7, v7, 1.0                                  // 0000000054D4: D1010007 0001E507
	v_rcp_f32_e32 v4, v4                                       // 0000000054DC: 7E084504
	v_rcp_f32_e32 v5, v5                                       // 0000000054E0: 7E0A4505
	v_rcp_f32_e32 v6, v6                                       // 0000000054E4: 7E0C4506
	v_rcp_f32_e32 v7, v7                                       // 0000000054E8: 7E0E4507
	v_mul_f32_e32 v88, v88, v4                                 // 0000000054EC: 0AB00958
	v_mul_f32_e32 v89, v89, v5                                 // 0000000054F0: 0AB20B59
	v_mul_f32_e32 v90, v90, v6                                 // 0000000054F4: 0AB40D5A
	v_mul_f32_e32 v91, v91, v7                                 // 0000000054F8: 0AB60F5B
	v_mul_f32_e32 v88, v88, v120                               // 0000000054FC: 0AB0F158
	v_mul_f32_e32 v89, v89, v121                               // 000000005500: 0AB2F359
	v_mul_f32_e32 v90, v90, v122                               // 000000005504: 0AB4F55A
	v_mul_f32_e32 v91, v91, v123                               // 000000005508: 0AB6F75B
	v_pk_mul_f32 v[4:5], v[92:93], v[92:93]                    // 00000000550C: D3B14004 1802B95C
	v_pk_mul_f32 v[6:7], v[94:95], v[94:95]                    // 000000005514: D3B14006 1802BD5E
	v_pk_fma_f32 v[4:5], v[4:5], s[78:79], v[8:9]              // 00000000551C: D3B04004 1C209D04
	v_pk_fma_f32 v[6:7], v[6:7], s[78:79], v[8:9]              // 000000005524: D3B04006 1C209D06
	v_pk_mul_f32 v[4:5], v[4:5], v[92:93]                      // 00000000552C: D3B14004 1802B904
	v_pk_mul_f32 v[6:7], v[6:7], v[94:95]                      // 000000005534: D3B14006 1802BD06
	v_pk_mul_f32 v[4:5], v[4:5], s[60:61]                      // 00000000553C: D3B14004 18007904
	v_pk_mul_f32 v[6:7], v[6:7], s[60:61]                      // 000000005544: D3B14006 18007906
	v_exp_f32_e32 v4, v4                                       // 00000000554C: 7E084104
	v_exp_f32_e32 v5, v5                                       // 000000005550: 7E0A4105
	v_exp_f32_e32 v6, v6                                       // 000000005554: 7E0C4106
	v_exp_f32_e32 v7, v7                                       // 000000005558: 7E0E4107
	v_add_f32_e64 v4, v4, 1.0                                  // 00000000555C: D1010004 0001E504
	v_add_f32_e64 v5, v5, 1.0                                  // 000000005564: D1010005 0001E505
	v_add_f32_e64 v6, v6, 1.0                                  // 00000000556C: D1010006 0001E506
	v_add_f32_e64 v7, v7, 1.0                                  // 000000005574: D1010007 0001E507
	v_rcp_f32_e32 v4, v4                                       // 00000000557C: 7E084504
	v_rcp_f32_e32 v5, v5                                       // 000000005580: 7E0A4505
	v_rcp_f32_e32 v6, v6                                       // 000000005584: 7E0C4506
	v_rcp_f32_e32 v7, v7                                       // 000000005588: 7E0E4507
	v_mul_f32_e32 v92, v92, v4                                 // 00000000558C: 0AB8095C
	v_mul_f32_e32 v93, v93, v5                                 // 000000005590: 0ABA0B5D
	v_mul_f32_e32 v94, v94, v6                                 // 000000005594: 0ABC0D5E
	v_mul_f32_e32 v95, v95, v7                                 // 000000005598: 0ABE0F5F
	v_mul_f32_e32 v92, v92, v124                               // 00000000559C: 0AB8F95C
	v_mul_f32_e32 v93, v93, v125                               // 0000000055A0: 0ABAFB5D
	v_mul_f32_e32 v94, v94, v126                               // 0000000055A4: 0ABCFD5E
	v_mul_f32_e32 v95, v95, v127                               // 0000000055A8: 0ABEFF5F
	v_pk_mul_f32 v[4:5], v[96:97], v[96:97]                    // 0000000055AC: D3B14004 1802C160
	v_pk_mul_f32 v[6:7], v[98:99], v[98:99]                    // 0000000055B4: D3B14006 1802C562
	v_pk_fma_f32 v[4:5], v[4:5], s[78:79], v[8:9]              // 0000000055BC: D3B04004 1C209D04
	v_pk_fma_f32 v[6:7], v[6:7], s[78:79], v[8:9]              // 0000000055C4: D3B04006 1C209D06
	v_pk_mul_f32 v[4:5], v[4:5], v[96:97]                      // 0000000055CC: D3B14004 1802C104
	v_pk_mul_f32 v[6:7], v[6:7], v[98:99]                      // 0000000055D4: D3B14006 1802C506
	v_pk_mul_f32 v[4:5], v[4:5], s[60:61]                      // 0000000055DC: D3B14004 18007904
	v_pk_mul_f32 v[6:7], v[6:7], s[60:61]                      // 0000000055E4: D3B14006 18007906
	v_exp_f32_e32 v4, v4                                       // 0000000055EC: 7E084104
	v_exp_f32_e32 v5, v5                                       // 0000000055F0: 7E0A4105
	v_exp_f32_e32 v6, v6                                       // 0000000055F4: 7E0C4106
	v_exp_f32_e32 v7, v7                                       // 0000000055F8: 7E0E4107
	v_add_f32_e64 v4, v4, 1.0                                  // 0000000055FC: D1010004 0001E504
	v_add_f32_e64 v5, v5, 1.0                                  // 000000005604: D1010005 0001E505
	v_add_f32_e64 v6, v6, 1.0                                  // 00000000560C: D1010006 0001E506
	v_add_f32_e64 v7, v7, 1.0                                  // 000000005614: D1010007 0001E507
	v_rcp_f32_e32 v4, v4                                       // 00000000561C: 7E084504
	v_rcp_f32_e32 v5, v5                                       // 000000005620: 7E0A4505
	v_rcp_f32_e32 v6, v6                                       // 000000005624: 7E0C4506
	v_rcp_f32_e32 v7, v7                                       // 000000005628: 7E0E4507
	v_mul_f32_e32 v96, v96, v4                                 // 00000000562C: 0AC00960
	v_mul_f32_e32 v97, v97, v5                                 // 000000005630: 0AC20B61
	v_mul_f32_e32 v98, v98, v6                                 // 000000005634: 0AC40D62
	v_mul_f32_e32 v99, v99, v7                                 // 000000005638: 0AC60F63
	v_mul_f32_e32 v96, v96, v128                               // 00000000563C: 0AC10160
	v_mul_f32_e32 v97, v97, v129                               // 000000005640: 0AC30361
	v_mul_f32_e32 v98, v98, v130                               // 000000005644: 0AC50562
	v_mul_f32_e32 v99, v99, v131                               // 000000005648: 0AC70763
	v_pk_mul_f32 v[4:5], v[100:101], v[100:101]                // 00000000564C: D3B14004 1802C964
	v_pk_mul_f32 v[6:7], v[102:103], v[102:103]                // 000000005654: D3B14006 1802CD66
	v_pk_fma_f32 v[4:5], v[4:5], s[78:79], v[8:9]              // 00000000565C: D3B04004 1C209D04
	v_pk_fma_f32 v[6:7], v[6:7], s[78:79], v[8:9]              // 000000005664: D3B04006 1C209D06
	v_pk_mul_f32 v[4:5], v[4:5], v[100:101]                    // 00000000566C: D3B14004 1802C904
	v_pk_mul_f32 v[6:7], v[6:7], v[102:103]                    // 000000005674: D3B14006 1802CD06
	v_pk_mul_f32 v[4:5], v[4:5], s[60:61]                      // 00000000567C: D3B14004 18007904
	v_pk_mul_f32 v[6:7], v[6:7], s[60:61]                      // 000000005684: D3B14006 18007906
	v_exp_f32_e32 v4, v4                                       // 00000000568C: 7E084104
	v_exp_f32_e32 v5, v5                                       // 000000005690: 7E0A4105
	v_exp_f32_e32 v6, v6                                       // 000000005694: 7E0C4106
	v_exp_f32_e32 v7, v7                                       // 000000005698: 7E0E4107
	v_add_f32_e64 v4, v4, 1.0                                  // 00000000569C: D1010004 0001E504
	v_add_f32_e64 v5, v5, 1.0                                  // 0000000056A4: D1010005 0001E505
	v_add_f32_e64 v6, v6, 1.0                                  // 0000000056AC: D1010006 0001E506
	v_add_f32_e64 v7, v7, 1.0                                  // 0000000056B4: D1010007 0001E507
	v_rcp_f32_e32 v4, v4                                       // 0000000056BC: 7E084504
	v_rcp_f32_e32 v5, v5                                       // 0000000056C0: 7E0A4505
	v_rcp_f32_e32 v6, v6                                       // 0000000056C4: 7E0C4506
	v_rcp_f32_e32 v7, v7                                       // 0000000056C8: 7E0E4507
	v_mul_f32_e32 v100, v100, v4                               // 0000000056CC: 0AC80964
	v_mul_f32_e32 v101, v101, v5                               // 0000000056D0: 0ACA0B65
	v_mul_f32_e32 v102, v102, v6                               // 0000000056D4: 0ACC0D66
	v_mul_f32_e32 v103, v103, v7                               // 0000000056D8: 0ACE0F67
	v_mul_f32_e32 v100, v100, v132                             // 0000000056DC: 0AC90964
	v_mul_f32_e32 v101, v101, v133                             // 0000000056E0: 0ACB0B65
	v_mul_f32_e32 v102, v102, v134                             // 0000000056E4: 0ACD0D66
	v_mul_f32_e32 v103, v103, v135                             // 0000000056E8: 0ACF0F67
	v_pk_mul_f32 v[4:5], v[104:105], v[104:105]                // 0000000056EC: D3B14004 1802D168
	v_pk_mul_f32 v[6:7], v[106:107], v[106:107]                // 0000000056F4: D3B14006 1802D56A
	v_pk_fma_f32 v[4:5], v[4:5], s[78:79], v[8:9]              // 0000000056FC: D3B04004 1C209D04
	v_pk_fma_f32 v[6:7], v[6:7], s[78:79], v[8:9]              // 000000005704: D3B04006 1C209D06
	v_pk_mul_f32 v[4:5], v[4:5], v[104:105]                    // 00000000570C: D3B14004 1802D104
	v_pk_mul_f32 v[6:7], v[6:7], v[106:107]                    // 000000005714: D3B14006 1802D506
	v_pk_mul_f32 v[4:5], v[4:5], s[60:61]                      // 00000000571C: D3B14004 18007904
	v_pk_mul_f32 v[6:7], v[6:7], s[60:61]                      // 000000005724: D3B14006 18007906
	v_exp_f32_e32 v4, v4                                       // 00000000572C: 7E084104
	v_exp_f32_e32 v5, v5                                       // 000000005730: 7E0A4105
	v_exp_f32_e32 v6, v6                                       // 000000005734: 7E0C4106
	v_exp_f32_e32 v7, v7                                       // 000000005738: 7E0E4107
	v_add_f32_e64 v4, v4, 1.0                                  // 00000000573C: D1010004 0001E504
	v_add_f32_e64 v5, v5, 1.0                                  // 000000005744: D1010005 0001E505
	v_add_f32_e64 v6, v6, 1.0                                  // 00000000574C: D1010006 0001E506
	v_add_f32_e64 v7, v7, 1.0                                  // 000000005754: D1010007 0001E507
	v_rcp_f32_e32 v4, v4                                       // 00000000575C: 7E084504
	v_rcp_f32_e32 v5, v5                                       // 000000005760: 7E0A4505
	v_rcp_f32_e32 v6, v6                                       // 000000005764: 7E0C4506
	v_rcp_f32_e32 v7, v7                                       // 000000005768: 7E0E4507
	v_mul_f32_e32 v104, v104, v4                               // 00000000576C: 0AD00968
	v_mul_f32_e32 v105, v105, v5                               // 000000005770: 0AD20B69
	v_mul_f32_e32 v106, v106, v6                               // 000000005774: 0AD40D6A
	v_mul_f32_e32 v107, v107, v7                               // 000000005778: 0AD60F6B
	v_mul_f32_e32 v104, v104, v136                             // 00000000577C: 0AD11168
	v_mul_f32_e32 v105, v105, v137                             // 000000005780: 0AD31369
	v_mul_f32_e32 v106, v106, v138                             // 000000005784: 0AD5156A
	v_mul_f32_e32 v107, v107, v139                             // 000000005788: 0AD7176B
	v_pk_mul_f32 v[4:5], v[108:109], v[108:109]                // 00000000578C: D3B14004 1802D96C
	v_pk_mul_f32 v[6:7], v[110:111], v[110:111]                // 000000005794: D3B14006 1802DD6E
	v_pk_fma_f32 v[4:5], v[4:5], s[78:79], v[8:9]              // 00000000579C: D3B04004 1C209D04
	v_pk_fma_f32 v[6:7], v[6:7], s[78:79], v[8:9]              // 0000000057A4: D3B04006 1C209D06
	v_pk_mul_f32 v[4:5], v[4:5], v[108:109]                    // 0000000057AC: D3B14004 1802D904
	v_pk_mul_f32 v[6:7], v[6:7], v[110:111]                    // 0000000057B4: D3B14006 1802DD06
	v_pk_mul_f32 v[4:5], v[4:5], s[60:61]                      // 0000000057BC: D3B14004 18007904
	v_pk_mul_f32 v[6:7], v[6:7], s[60:61]                      // 0000000057C4: D3B14006 18007906
	v_exp_f32_e32 v4, v4                                       // 0000000057CC: 7E084104
	v_exp_f32_e32 v5, v5                                       // 0000000057D0: 7E0A4105
	v_exp_f32_e32 v6, v6                                       // 0000000057D4: 7E0C4106
	v_exp_f32_e32 v7, v7                                       // 0000000057D8: 7E0E4107
	v_add_f32_e64 v4, v4, 1.0                                  // 0000000057DC: D1010004 0001E504
	v_add_f32_e64 v5, v5, 1.0                                  // 0000000057E4: D1010005 0001E505
	v_add_f32_e64 v6, v6, 1.0                                  // 0000000057EC: D1010006 0001E506
	v_add_f32_e64 v7, v7, 1.0                                  // 0000000057F4: D1010007 0001E507
	v_rcp_f32_e32 v4, v4                                       // 0000000057FC: 7E084504
	v_rcp_f32_e32 v5, v5                                       // 000000005800: 7E0A4505
	v_rcp_f32_e32 v6, v6                                       // 000000005804: 7E0C4506
	v_rcp_f32_e32 v7, v7                                       // 000000005808: 7E0E4507
	v_mul_f32_e32 v108, v108, v4                               // 00000000580C: 0AD8096C
	v_mul_f32_e32 v109, v109, v5                               // 000000005810: 0ADA0B6D
	v_mul_f32_e32 v110, v110, v6                               // 000000005814: 0ADC0D6E
	v_mul_f32_e32 v111, v111, v7                               // 000000005818: 0ADE0F6F
	v_mul_f32_e32 v108, v108, v140                             // 00000000581C: 0AD9196C
	v_mul_f32_e32 v109, v109, v141                             // 000000005820: 0ADB1B6D
	v_mul_f32_e32 v110, v110, v142                             // 000000005824: 0ADD1D6E
	v_mul_f32_e32 v111, v111, v143                             // 000000005828: 0ADF1F6F
	s_branch label_0C8C                                        // 00000000582C: BF820100

0000000000005830 <label_0B8C>:
	v_mul_f32_e64 v4, -v80, s6                                 // 000000005830: D1050004 20000D50
	v_mul_f32_e64 v5, -v81, s6                                 // 000000005838: D1050005 20000D51
	v_mul_f32_e64 v6, -v82, s6                                 // 000000005840: D1050006 20000D52
	v_mul_f32_e64 v7, -v83, s6                                 // 000000005848: D1050007 20000D53
	v_exp_f32_e32 v4, v4                                       // 000000005850: 7E084104
	v_exp_f32_e32 v5, v5                                       // 000000005854: 7E0A4105
	v_exp_f32_e32 v6, v6                                       // 000000005858: 7E0C4106
	v_exp_f32_e32 v7, v7                                       // 00000000585C: 7E0E4107
	v_add_f32_e64 v4, v4, 1.0                                  // 000000005860: D1010004 0001E504
	v_add_f32_e64 v5, v5, 1.0                                  // 000000005868: D1010005 0001E505
	v_add_f32_e64 v6, v6, 1.0                                  // 000000005870: D1010006 0001E506
	v_add_f32_e64 v7, v7, 1.0                                  // 000000005878: D1010007 0001E507
	v_rcp_f32_e32 v4, v4                                       // 000000005880: 7E084504
	v_rcp_f32_e32 v5, v5                                       // 000000005884: 7E0A4505
	v_rcp_f32_e32 v6, v6                                       // 000000005888: 7E0C4506
	v_rcp_f32_e32 v7, v7                                       // 00000000588C: 7E0E4507
	v_mul_f32_e32 v80, v80, v4                                 // 000000005890: 0AA00950
	v_mul_f32_e32 v81, v81, v5                                 // 000000005894: 0AA20B51
	v_mul_f32_e32 v82, v82, v6                                 // 000000005898: 0AA40D52
	v_mul_f32_e32 v83, v83, v7                                 // 00000000589C: 0AA60F53
	v_mul_f32_e32 v80, v80, v112                               // 0000000058A0: 0AA0E150
	v_mul_f32_e32 v81, v81, v113                               // 0000000058A4: 0AA2E351
	v_mul_f32_e32 v82, v82, v114                               // 0000000058A8: 0AA4E552
	v_mul_f32_e32 v83, v83, v115                               // 0000000058AC: 0AA6E753
	v_mul_f32_e64 v4, -v84, s6                                 // 0000000058B0: D1050004 20000D54
	v_mul_f32_e64 v5, -v85, s6                                 // 0000000058B8: D1050005 20000D55
	v_mul_f32_e64 v6, -v86, s6                                 // 0000000058C0: D1050006 20000D56
	v_mul_f32_e64 v7, -v87, s6                                 // 0000000058C8: D1050007 20000D57
	v_exp_f32_e32 v4, v4                                       // 0000000058D0: 7E084104
	v_exp_f32_e32 v5, v5                                       // 0000000058D4: 7E0A4105
	v_exp_f32_e32 v6, v6                                       // 0000000058D8: 7E0C4106
	v_exp_f32_e32 v7, v7                                       // 0000000058DC: 7E0E4107
	v_add_f32_e64 v4, v4, 1.0                                  // 0000000058E0: D1010004 0001E504
	v_add_f32_e64 v5, v5, 1.0                                  // 0000000058E8: D1010005 0001E505
	v_add_f32_e64 v6, v6, 1.0                                  // 0000000058F0: D1010006 0001E506
	v_add_f32_e64 v7, v7, 1.0                                  // 0000000058F8: D1010007 0001E507
	v_rcp_f32_e32 v4, v4                                       // 000000005900: 7E084504
	v_rcp_f32_e32 v5, v5                                       // 000000005904: 7E0A4505
	v_rcp_f32_e32 v6, v6                                       // 000000005908: 7E0C4506
	v_rcp_f32_e32 v7, v7                                       // 00000000590C: 7E0E4507
	v_mul_f32_e32 v84, v84, v4                                 // 000000005910: 0AA80954
	v_mul_f32_e32 v85, v85, v5                                 // 000000005914: 0AAA0B55
	v_mul_f32_e32 v86, v86, v6                                 // 000000005918: 0AAC0D56
	v_mul_f32_e32 v87, v87, v7                                 // 00000000591C: 0AAE0F57
	v_mul_f32_e32 v84, v84, v116                               // 000000005920: 0AA8E954
	v_mul_f32_e32 v85, v85, v117                               // 000000005924: 0AAAEB55
	v_mul_f32_e32 v86, v86, v118                               // 000000005928: 0AACED56
	v_mul_f32_e32 v87, v87, v119                               // 00000000592C: 0AAEEF57
	v_mul_f32_e64 v4, -v88, s6                                 // 000000005930: D1050004 20000D58
	v_mul_f32_e64 v5, -v89, s6                                 // 000000005938: D1050005 20000D59
	v_mul_f32_e64 v6, -v90, s6                                 // 000000005940: D1050006 20000D5A
	v_mul_f32_e64 v7, -v91, s6                                 // 000000005948: D1050007 20000D5B
	v_exp_f32_e32 v4, v4                                       // 000000005950: 7E084104
	v_exp_f32_e32 v5, v5                                       // 000000005954: 7E0A4105
	v_exp_f32_e32 v6, v6                                       // 000000005958: 7E0C4106
	v_exp_f32_e32 v7, v7                                       // 00000000595C: 7E0E4107
	v_add_f32_e64 v4, v4, 1.0                                  // 000000005960: D1010004 0001E504
	v_add_f32_e64 v5, v5, 1.0                                  // 000000005968: D1010005 0001E505
	v_add_f32_e64 v6, v6, 1.0                                  // 000000005970: D1010006 0001E506
	v_add_f32_e64 v7, v7, 1.0                                  // 000000005978: D1010007 0001E507
	v_rcp_f32_e32 v4, v4                                       // 000000005980: 7E084504
	v_rcp_f32_e32 v5, v5                                       // 000000005984: 7E0A4505
	v_rcp_f32_e32 v6, v6                                       // 000000005988: 7E0C4506
	v_rcp_f32_e32 v7, v7                                       // 00000000598C: 7E0E4507
	v_mul_f32_e32 v88, v88, v4                                 // 000000005990: 0AB00958
	v_mul_f32_e32 v89, v89, v5                                 // 000000005994: 0AB20B59
	v_mul_f32_e32 v90, v90, v6                                 // 000000005998: 0AB40D5A
	v_mul_f32_e32 v91, v91, v7                                 // 00000000599C: 0AB60F5B
	v_mul_f32_e32 v88, v88, v120                               // 0000000059A0: 0AB0F158
	v_mul_f32_e32 v89, v89, v121                               // 0000000059A4: 0AB2F359
	v_mul_f32_e32 v90, v90, v122                               // 0000000059A8: 0AB4F55A
	v_mul_f32_e32 v91, v91, v123                               // 0000000059AC: 0AB6F75B
	v_mul_f32_e64 v4, -v92, s6                                 // 0000000059B0: D1050004 20000D5C
	v_mul_f32_e64 v5, -v93, s6                                 // 0000000059B8: D1050005 20000D5D
	v_mul_f32_e64 v6, -v94, s6                                 // 0000000059C0: D1050006 20000D5E
	v_mul_f32_e64 v7, -v95, s6                                 // 0000000059C8: D1050007 20000D5F
	v_exp_f32_e32 v4, v4                                       // 0000000059D0: 7E084104
	v_exp_f32_e32 v5, v5                                       // 0000000059D4: 7E0A4105
	v_exp_f32_e32 v6, v6                                       // 0000000059D8: 7E0C4106
	v_exp_f32_e32 v7, v7                                       // 0000000059DC: 7E0E4107
	v_add_f32_e64 v4, v4, 1.0                                  // 0000000059E0: D1010004 0001E504
	v_add_f32_e64 v5, v5, 1.0                                  // 0000000059E8: D1010005 0001E505
	v_add_f32_e64 v6, v6, 1.0                                  // 0000000059F0: D1010006 0001E506
	v_add_f32_e64 v7, v7, 1.0                                  // 0000000059F8: D1010007 0001E507
	v_rcp_f32_e32 v4, v4                                       // 000000005A00: 7E084504
	v_rcp_f32_e32 v5, v5                                       // 000000005A04: 7E0A4505
	v_rcp_f32_e32 v6, v6                                       // 000000005A08: 7E0C4506
	v_rcp_f32_e32 v7, v7                                       // 000000005A0C: 7E0E4507
	v_mul_f32_e32 v92, v92, v4                                 // 000000005A10: 0AB8095C
	v_mul_f32_e32 v93, v93, v5                                 // 000000005A14: 0ABA0B5D
	v_mul_f32_e32 v94, v94, v6                                 // 000000005A18: 0ABC0D5E
	v_mul_f32_e32 v95, v95, v7                                 // 000000005A1C: 0ABE0F5F
	v_mul_f32_e32 v92, v92, v124                               // 000000005A20: 0AB8F95C
	v_mul_f32_e32 v93, v93, v125                               // 000000005A24: 0ABAFB5D
	v_mul_f32_e32 v94, v94, v126                               // 000000005A28: 0ABCFD5E
	v_mul_f32_e32 v95, v95, v127                               // 000000005A2C: 0ABEFF5F
	v_mul_f32_e64 v4, -v96, s6                                 // 000000005A30: D1050004 20000D60
	v_mul_f32_e64 v5, -v97, s6                                 // 000000005A38: D1050005 20000D61
	v_mul_f32_e64 v6, -v98, s6                                 // 000000005A40: D1050006 20000D62
	v_mul_f32_e64 v7, -v99, s6                                 // 000000005A48: D1050007 20000D63
	v_exp_f32_e32 v4, v4                                       // 000000005A50: 7E084104
	v_exp_f32_e32 v5, v5                                       // 000000005A54: 7E0A4105
	v_exp_f32_e32 v6, v6                                       // 000000005A58: 7E0C4106
	v_exp_f32_e32 v7, v7                                       // 000000005A5C: 7E0E4107
	v_add_f32_e64 v4, v4, 1.0                                  // 000000005A60: D1010004 0001E504
	v_add_f32_e64 v5, v5, 1.0                                  // 000000005A68: D1010005 0001E505
	v_add_f32_e64 v6, v6, 1.0                                  // 000000005A70: D1010006 0001E506
	v_add_f32_e64 v7, v7, 1.0                                  // 000000005A78: D1010007 0001E507
	v_rcp_f32_e32 v4, v4                                       // 000000005A80: 7E084504
	v_rcp_f32_e32 v5, v5                                       // 000000005A84: 7E0A4505
	v_rcp_f32_e32 v6, v6                                       // 000000005A88: 7E0C4506
	v_rcp_f32_e32 v7, v7                                       // 000000005A8C: 7E0E4507
	v_mul_f32_e32 v96, v96, v4                                 // 000000005A90: 0AC00960
	v_mul_f32_e32 v97, v97, v5                                 // 000000005A94: 0AC20B61
	v_mul_f32_e32 v98, v98, v6                                 // 000000005A98: 0AC40D62
	v_mul_f32_e32 v99, v99, v7                                 // 000000005A9C: 0AC60F63
	v_mul_f32_e32 v96, v96, v128                               // 000000005AA0: 0AC10160
	v_mul_f32_e32 v97, v97, v129                               // 000000005AA4: 0AC30361
	v_mul_f32_e32 v98, v98, v130                               // 000000005AA8: 0AC50562
	v_mul_f32_e32 v99, v99, v131                               // 000000005AAC: 0AC70763
	v_mul_f32_e64 v4, -v100, s6                                // 000000005AB0: D1050004 20000D64
	v_mul_f32_e64 v5, -v101, s6                                // 000000005AB8: D1050005 20000D65
	v_mul_f32_e64 v6, -v102, s6                                // 000000005AC0: D1050006 20000D66
	v_mul_f32_e64 v7, -v103, s6                                // 000000005AC8: D1050007 20000D67
	v_exp_f32_e32 v4, v4                                       // 000000005AD0: 7E084104
	v_exp_f32_e32 v5, v5                                       // 000000005AD4: 7E0A4105
	v_exp_f32_e32 v6, v6                                       // 000000005AD8: 7E0C4106
	v_exp_f32_e32 v7, v7                                       // 000000005ADC: 7E0E4107
	v_add_f32_e64 v4, v4, 1.0                                  // 000000005AE0: D1010004 0001E504
	v_add_f32_e64 v5, v5, 1.0                                  // 000000005AE8: D1010005 0001E505
	v_add_f32_e64 v6, v6, 1.0                                  // 000000005AF0: D1010006 0001E506
	v_add_f32_e64 v7, v7, 1.0                                  // 000000005AF8: D1010007 0001E507
	v_rcp_f32_e32 v4, v4                                       // 000000005B00: 7E084504
	v_rcp_f32_e32 v5, v5                                       // 000000005B04: 7E0A4505
	v_rcp_f32_e32 v6, v6                                       // 000000005B08: 7E0C4506
	v_rcp_f32_e32 v7, v7                                       // 000000005B0C: 7E0E4507
	v_mul_f32_e32 v100, v100, v4                               // 000000005B10: 0AC80964
	v_mul_f32_e32 v101, v101, v5                               // 000000005B14: 0ACA0B65
	v_mul_f32_e32 v102, v102, v6                               // 000000005B18: 0ACC0D66
	v_mul_f32_e32 v103, v103, v7                               // 000000005B1C: 0ACE0F67
	v_mul_f32_e32 v100, v100, v132                             // 000000005B20: 0AC90964
	v_mul_f32_e32 v101, v101, v133                             // 000000005B24: 0ACB0B65
	v_mul_f32_e32 v102, v102, v134                             // 000000005B28: 0ACD0D66
	v_mul_f32_e32 v103, v103, v135                             // 000000005B2C: 0ACF0F67
	v_mul_f32_e64 v4, -v104, s6                                // 000000005B30: D1050004 20000D68
	v_mul_f32_e64 v5, -v105, s6                                // 000000005B38: D1050005 20000D69
	v_mul_f32_e64 v6, -v106, s6                                // 000000005B40: D1050006 20000D6A
	v_mul_f32_e64 v7, -v107, s6                                // 000000005B48: D1050007 20000D6B
	v_exp_f32_e32 v4, v4                                       // 000000005B50: 7E084104
	v_exp_f32_e32 v5, v5                                       // 000000005B54: 7E0A4105
	v_exp_f32_e32 v6, v6                                       // 000000005B58: 7E0C4106
	v_exp_f32_e32 v7, v7                                       // 000000005B5C: 7E0E4107
	v_add_f32_e64 v4, v4, 1.0                                  // 000000005B60: D1010004 0001E504
	v_add_f32_e64 v5, v5, 1.0                                  // 000000005B68: D1010005 0001E505
	v_add_f32_e64 v6, v6, 1.0                                  // 000000005B70: D1010006 0001E506
	v_add_f32_e64 v7, v7, 1.0                                  // 000000005B78: D1010007 0001E507
	v_rcp_f32_e32 v4, v4                                       // 000000005B80: 7E084504
	v_rcp_f32_e32 v5, v5                                       // 000000005B84: 7E0A4505
	v_rcp_f32_e32 v6, v6                                       // 000000005B88: 7E0C4506
	v_rcp_f32_e32 v7, v7                                       // 000000005B8C: 7E0E4507
	v_mul_f32_e32 v104, v104, v4                               // 000000005B90: 0AD00968
	v_mul_f32_e32 v105, v105, v5                               // 000000005B94: 0AD20B69
	v_mul_f32_e32 v106, v106, v6                               // 000000005B98: 0AD40D6A
	v_mul_f32_e32 v107, v107, v7                               // 000000005B9C: 0AD60F6B
	v_mul_f32_e32 v104, v104, v136                             // 000000005BA0: 0AD11168
	v_mul_f32_e32 v105, v105, v137                             // 000000005BA4: 0AD31369
	v_mul_f32_e32 v106, v106, v138                             // 000000005BA8: 0AD5156A
	v_mul_f32_e32 v107, v107, v139                             // 000000005BAC: 0AD7176B
	v_mul_f32_e64 v4, -v108, s6                                // 000000005BB0: D1050004 20000D6C
	v_mul_f32_e64 v5, -v109, s6                                // 000000005BB8: D1050005 20000D6D
	v_mul_f32_e64 v6, -v110, s6                                // 000000005BC0: D1050006 20000D6E
	v_mul_f32_e64 v7, -v111, s6                                // 000000005BC8: D1050007 20000D6F
	v_exp_f32_e32 v4, v4                                       // 000000005BD0: 7E084104
	v_exp_f32_e32 v5, v5                                       // 000000005BD4: 7E0A4105
	v_exp_f32_e32 v6, v6                                       // 000000005BD8: 7E0C4106
	v_exp_f32_e32 v7, v7                                       // 000000005BDC: 7E0E4107
	v_add_f32_e64 v4, v4, 1.0                                  // 000000005BE0: D1010004 0001E504
	v_add_f32_e64 v5, v5, 1.0                                  // 000000005BE8: D1010005 0001E505
	v_add_f32_e64 v6, v6, 1.0                                  // 000000005BF0: D1010006 0001E506
	v_add_f32_e64 v7, v7, 1.0                                  // 000000005BF8: D1010007 0001E507
	v_rcp_f32_e32 v4, v4                                       // 000000005C00: 7E084504
	v_rcp_f32_e32 v5, v5                                       // 000000005C04: 7E0A4505
	v_rcp_f32_e32 v6, v6                                       // 000000005C08: 7E0C4506
	v_rcp_f32_e32 v7, v7                                       // 000000005C0C: 7E0E4507
	v_mul_f32_e32 v108, v108, v4                               // 000000005C10: 0AD8096C
	v_mul_f32_e32 v109, v109, v5                               // 000000005C14: 0ADA0B6D
	v_mul_f32_e32 v110, v110, v6                               // 000000005C18: 0ADC0D6E
	v_mul_f32_e32 v111, v111, v7                               // 000000005C1C: 0ADE0F6F
	v_mul_f32_e32 v108, v108, v140                             // 000000005C20: 0AD9196C
	v_mul_f32_e32 v109, v109, v141                             // 000000005C24: 0ADB1B6D
	v_mul_f32_e32 v110, v110, v142                             // 000000005C28: 0ADD1D6E
	v_mul_f32_e32 v111, v111, v143                             // 000000005C2C: 0ADF1F6F

0000000000005c30 <label_0C8C>:
	v_cmp_u_f32_e64 s[46:47], v80, v80                         // 000000005C30: D048002E 0002A150
	v_add3_u32 v16, v80, v19, 1                                // 000000005C38: D1FF0010 02062750
	v_cndmask_b32_e64 v4, v16, v18, s[46:47]                   // 000000005C40: D1000004 00BA2510
	v_cmp_u_f32_e64 s[46:47], v81, v81                         // 000000005C48: D048002E 0002A351
	v_add3_u32 v16, v81, v19, 1                                // 000000005C50: D1FF0010 02062751
	v_cndmask_b32_e64 v5, v16, v18, s[46:47]                   // 000000005C58: D1000005 00BA2510
	v_perm_b32 v80, v5, v4, s52                                // 000000005C60: D1ED0050 00D20905
	v_cmp_u_f32_e64 s[46:47], v82, v82                         // 000000005C68: D048002E 0002A552
	v_add3_u32 v16, v82, v19, 1                                // 000000005C70: D1FF0010 02062752
	v_cndmask_b32_e64 v4, v16, v18, s[46:47]                   // 000000005C78: D1000004 00BA2510
	v_cmp_u_f32_e64 s[46:47], v83, v83                         // 000000005C80: D048002E 0002A753
	v_add3_u32 v16, v83, v19, 1                                // 000000005C88: D1FF0010 02062753
	v_cndmask_b32_e64 v5, v16, v18, s[46:47]                   // 000000005C90: D1000005 00BA2510
	v_perm_b32 v81, v5, v4, s52                                // 000000005C98: D1ED0051 00D20905
	v_cmp_u_f32_e64 s[46:47], v84, v84                         // 000000005CA0: D048002E 0002A954
	v_add3_u32 v16, v84, v19, 1                                // 000000005CA8: D1FF0010 02062754
	v_cndmask_b32_e64 v4, v16, v18, s[46:47]                   // 000000005CB0: D1000004 00BA2510
	v_cmp_u_f32_e64 s[46:47], v85, v85                         // 000000005CB8: D048002E 0002AB55
	v_add3_u32 v16, v85, v19, 1                                // 000000005CC0: D1FF0010 02062755
	v_cndmask_b32_e64 v5, v16, v18, s[46:47]                   // 000000005CC8: D1000005 00BA2510
	v_perm_b32 v82, v5, v4, s52                                // 000000005CD0: D1ED0052 00D20905
	v_cmp_u_f32_e64 s[46:47], v86, v86                         // 000000005CD8: D048002E 0002AD56
	v_add3_u32 v16, v86, v19, 1                                // 000000005CE0: D1FF0010 02062756
	v_cndmask_b32_e64 v4, v16, v18, s[46:47]                   // 000000005CE8: D1000004 00BA2510
	v_cmp_u_f32_e64 s[46:47], v87, v87                         // 000000005CF0: D048002E 0002AF57
	v_add3_u32 v16, v87, v19, 1                                // 000000005CF8: D1FF0010 02062757
	v_cndmask_b32_e64 v5, v16, v18, s[46:47]                   // 000000005D00: D1000005 00BA2510
	v_perm_b32 v83, v5, v4, s52                                // 000000005D08: D1ED0053 00D20905
	v_cmp_u_f32_e64 s[46:47], v88, v88                         // 000000005D10: D048002E 0002B158
	v_add3_u32 v16, v88, v19, 1                                // 000000005D18: D1FF0010 02062758
	v_cndmask_b32_e64 v4, v16, v18, s[46:47]                   // 000000005D20: D1000004 00BA2510
	v_cmp_u_f32_e64 s[46:47], v89, v89                         // 000000005D28: D048002E 0002B359
	v_add3_u32 v16, v89, v19, 1                                // 000000005D30: D1FF0010 02062759
	v_cndmask_b32_e64 v5, v16, v18, s[46:47]                   // 000000005D38: D1000005 00BA2510
	v_perm_b32 v84, v5, v4, s52                                // 000000005D40: D1ED0054 00D20905
	v_cmp_u_f32_e64 s[46:47], v90, v90                         // 000000005D48: D048002E 0002B55A
	v_add3_u32 v16, v90, v19, 1                                // 000000005D50: D1FF0010 0206275A
	v_cndmask_b32_e64 v4, v16, v18, s[46:47]                   // 000000005D58: D1000004 00BA2510
	v_cmp_u_f32_e64 s[46:47], v91, v91                         // 000000005D60: D048002E 0002B75B
	v_add3_u32 v16, v91, v19, 1                                // 000000005D68: D1FF0010 0206275B
	v_cndmask_b32_e64 v5, v16, v18, s[46:47]                   // 000000005D70: D1000005 00BA2510
	v_perm_b32 v85, v5, v4, s52                                // 000000005D78: D1ED0055 00D20905
	v_cmp_u_f32_e64 s[46:47], v92, v92                         // 000000005D80: D048002E 0002B95C
	v_add3_u32 v16, v92, v19, 1                                // 000000005D88: D1FF0010 0206275C
	v_cndmask_b32_e64 v4, v16, v18, s[46:47]                   // 000000005D90: D1000004 00BA2510
	v_cmp_u_f32_e64 s[46:47], v93, v93                         // 000000005D98: D048002E 0002BB5D
	v_add3_u32 v16, v93, v19, 1                                // 000000005DA0: D1FF0010 0206275D
	v_cndmask_b32_e64 v5, v16, v18, s[46:47]                   // 000000005DA8: D1000005 00BA2510
	v_perm_b32 v86, v5, v4, s52                                // 000000005DB0: D1ED0056 00D20905
	v_cmp_u_f32_e64 s[46:47], v94, v94                         // 000000005DB8: D048002E 0002BD5E
	v_add3_u32 v16, v94, v19, 1                                // 000000005DC0: D1FF0010 0206275E
	v_cndmask_b32_e64 v4, v16, v18, s[46:47]                   // 000000005DC8: D1000004 00BA2510
	v_cmp_u_f32_e64 s[46:47], v95, v95                         // 000000005DD0: D048002E 0002BF5F
	v_add3_u32 v16, v95, v19, 1                                // 000000005DD8: D1FF0010 0206275F
	v_cndmask_b32_e64 v5, v16, v18, s[46:47]                   // 000000005DE0: D1000005 00BA2510
	v_perm_b32 v87, v5, v4, s52                                // 000000005DE8: D1ED0057 00D20905
	v_cmp_u_f32_e64 s[46:47], v96, v96                         // 000000005DF0: D048002E 0002C160
	v_add3_u32 v16, v96, v19, 1                                // 000000005DF8: D1FF0010 02062760
	v_cndmask_b32_e64 v4, v16, v18, s[46:47]                   // 000000005E00: D1000004 00BA2510
	v_cmp_u_f32_e64 s[46:47], v97, v97                         // 000000005E08: D048002E 0002C361
	v_add3_u32 v16, v97, v19, 1                                // 000000005E10: D1FF0010 02062761
	v_cndmask_b32_e64 v5, v16, v18, s[46:47]                   // 000000005E18: D1000005 00BA2510
	v_perm_b32 v88, v5, v4, s52                                // 000000005E20: D1ED0058 00D20905
	v_cmp_u_f32_e64 s[46:47], v98, v98                         // 000000005E28: D048002E 0002C562
	v_add3_u32 v16, v98, v19, 1                                // 000000005E30: D1FF0010 02062762
	v_cndmask_b32_e64 v4, v16, v18, s[46:47]                   // 000000005E38: D1000004 00BA2510
	v_cmp_u_f32_e64 s[46:47], v99, v99                         // 000000005E40: D048002E 0002C763
	v_add3_u32 v16, v99, v19, 1                                // 000000005E48: D1FF0010 02062763
	v_cndmask_b32_e64 v5, v16, v18, s[46:47]                   // 000000005E50: D1000005 00BA2510
	v_perm_b32 v89, v5, v4, s52                                // 000000005E58: D1ED0059 00D20905
	v_cmp_u_f32_e64 s[46:47], v100, v100                       // 000000005E60: D048002E 0002C964
	v_add3_u32 v16, v100, v19, 1                               // 000000005E68: D1FF0010 02062764
	v_cndmask_b32_e64 v4, v16, v18, s[46:47]                   // 000000005E70: D1000004 00BA2510
	v_cmp_u_f32_e64 s[46:47], v101, v101                       // 000000005E78: D048002E 0002CB65
	v_add3_u32 v16, v101, v19, 1                               // 000000005E80: D1FF0010 02062765
	v_cndmask_b32_e64 v5, v16, v18, s[46:47]                   // 000000005E88: D1000005 00BA2510
	v_perm_b32 v90, v5, v4, s52                                // 000000005E90: D1ED005A 00D20905
	v_cmp_u_f32_e64 s[46:47], v102, v102                       // 000000005E98: D048002E 0002CD66
	v_add3_u32 v16, v102, v19, 1                               // 000000005EA0: D1FF0010 02062766
	v_cndmask_b32_e64 v4, v16, v18, s[46:47]                   // 000000005EA8: D1000004 00BA2510
	v_cmp_u_f32_e64 s[46:47], v103, v103                       // 000000005EB0: D048002E 0002CF67
	v_add3_u32 v16, v103, v19, 1                               // 000000005EB8: D1FF0010 02062767
	v_cndmask_b32_e64 v5, v16, v18, s[46:47]                   // 000000005EC0: D1000005 00BA2510
	v_perm_b32 v91, v5, v4, s52                                // 000000005EC8: D1ED005B 00D20905
	v_cmp_u_f32_e64 s[46:47], v104, v104                       // 000000005ED0: D048002E 0002D168
	v_add3_u32 v16, v104, v19, 1                               // 000000005ED8: D1FF0010 02062768
	v_cndmask_b32_e64 v4, v16, v18, s[46:47]                   // 000000005EE0: D1000004 00BA2510
	v_cmp_u_f32_e64 s[46:47], v105, v105                       // 000000005EE8: D048002E 0002D369
	v_add3_u32 v16, v105, v19, 1                               // 000000005EF0: D1FF0010 02062769
	v_cndmask_b32_e64 v5, v16, v18, s[46:47]                   // 000000005EF8: D1000005 00BA2510
	v_perm_b32 v92, v5, v4, s52                                // 000000005F00: D1ED005C 00D20905
	v_cmp_u_f32_e64 s[46:47], v106, v106                       // 000000005F08: D048002E 0002D56A
	v_add3_u32 v16, v106, v19, 1                               // 000000005F10: D1FF0010 0206276A
	v_cndmask_b32_e64 v4, v16, v18, s[46:47]                   // 000000005F18: D1000004 00BA2510
	v_cmp_u_f32_e64 s[46:47], v107, v107                       // 000000005F20: D048002E 0002D76B
	v_add3_u32 v16, v107, v19, 1                               // 000000005F28: D1FF0010 0206276B
	v_cndmask_b32_e64 v5, v16, v18, s[46:47]                   // 000000005F30: D1000005 00BA2510
	v_perm_b32 v93, v5, v4, s52                                // 000000005F38: D1ED005D 00D20905
	v_cmp_u_f32_e64 s[46:47], v108, v108                       // 000000005F40: D048002E 0002D96C
	v_add3_u32 v16, v108, v19, 1                               // 000000005F48: D1FF0010 0206276C
	v_cndmask_b32_e64 v4, v16, v18, s[46:47]                   // 000000005F50: D1000004 00BA2510
	v_cmp_u_f32_e64 s[46:47], v109, v109                       // 000000005F58: D048002E 0002DB6D
	v_add3_u32 v16, v109, v19, 1                               // 000000005F60: D1FF0010 0206276D
	v_cndmask_b32_e64 v5, v16, v18, s[46:47]                   // 000000005F68: D1000005 00BA2510
	v_perm_b32 v94, v5, v4, s52                                // 000000005F70: D1ED005E 00D20905
	v_cmp_u_f32_e64 s[46:47], v110, v110                       // 000000005F78: D048002E 0002DD6E
	v_add3_u32 v16, v110, v19, 1                               // 000000005F80: D1FF0010 0206276E
	v_cndmask_b32_e64 v4, v16, v18, s[46:47]                   // 000000005F88: D1000004 00BA2510
	v_cmp_u_f32_e64 s[46:47], v111, v111                       // 000000005F90: D048002E 0002DF6F
	v_add3_u32 v16, v111, v19, 1                               // 000000005F98: D1FF0010 0206276F
	v_cndmask_b32_e64 v5, v16, v18, s[46:47]                   // 000000005FA0: D1000005 00BA2510
	v_perm_b32 v95, v5, v4, s52                                // 000000005FA8: D1ED005F 00D20905
	ds_write_b64 v20, v[80:81]                                 // 000000005FB0: D89A0000 00005014
	ds_write_b64 v20, v[82:83] offset:2176                     // 000000005FB8: D89A0880 00005214
	ds_write_b64 v20, v[84:85] offset:4352                     // 000000005FC0: D89A1100 00005414
	ds_write_b64 v20, v[86:87] offset:6528                     // 000000005FC8: D89A1980 00005614
	ds_write_b64 v20, v[88:89] offset:8704                     // 000000005FD0: D89A2200 00005814
	ds_write_b64 v20, v[90:91] offset:10880                    // 000000005FD8: D89A2A80 00005A14
	ds_write_b64 v20, v[92:93] offset:13056                    // 000000005FE0: D89A3300 00005C14
	ds_write_b64 v20, v[94:95] offset:15232                    // 000000005FE8: D89A3B80 00005E14
	v_lshrrev_b32_e32 v4, 5, v0                                // 000000005FF0: 20080085
	v_xor_b32_e32 v5, 1, v4                                    // 000000005FF4: 2A0A0881
	s_mul_i32 s60, s65, 2                                      // 000000005FF8: 923C8241
	s_cmp_eq_u32 s88, 0                                        // 000000005FFC: BF068058
	s_cselect_b32 s61, 1, 4                                    // 000000006000: 853D8481
	s_mul_i32 s60, s61, s60                                    // 000000006004: 923C3C3D
	v_readlane_b32 s82, v3, 0                                  // 000000006008: D2890052 00010103
	s_lshr_b32 s61, s82, 24                                    // 000000006010: 8F3D9852
	s_and_b32 s82, s82, 0xffffff                               // 000000006014: 8652FF52 00FFFFFF
	s_mul_i32 s82, s82, s71                                    // 00000000601C: 92524752
	s_mul_i32 s61, s60, s61                                    // 000000006020: 923D3D3C
	s_add_u32 s82, s82, s61                                    // 000000006024: 80523D52
	v_mul_lo_u32 v6, v5, s82                                   // 000000006028: D2850006 0000A505
	v_readlane_b32 s82, v3, 1                                  // 000000006030: D2890052 00010303
	s_lshr_b32 s61, s82, 24                                    // 000000006038: 8F3D9852
	s_and_b32 s82, s82, 0xffffff                               // 00000000603C: 8652FF52 00FFFFFF
	s_mul_i32 s82, s82, s71                                    // 000000006044: 92524752
	s_mul_i32 s61, s60, s61                                    // 000000006048: 923D3D3C
	s_add_u32 s82, s82, s61                                    // 00000000604C: 80523D52
	v_mul_lo_u32 v7, v4, s82                                   // 000000006050: D2850007 0000A504
	v_add_u32_e32 v62, v6, v7                                  // 000000006058: 687C0F06
	v_readlane_b32 s82, v3, 2                                  // 00000000605C: D2890052 00010503
	s_lshr_b32 s61, s82, 24                                    // 000000006064: 8F3D9852
	s_and_b32 s82, s82, 0xffffff                               // 000000006068: 8652FF52 00FFFFFF
	s_mul_i32 s82, s82, s71                                    // 000000006070: 92524752
	s_mul_i32 s61, s60, s61                                    // 000000006074: 923D3D3C
	s_add_u32 s82, s82, s61                                    // 000000006078: 80523D52
	v_mul_lo_u32 v6, v5, s82                                   // 00000000607C: D2850006 0000A505
	v_readlane_b32 s82, v3, 3                                  // 000000006084: D2890052 00010703
	s_lshr_b32 s61, s82, 24                                    // 00000000608C: 8F3D9852
	s_and_b32 s82, s82, 0xffffff                               // 000000006090: 8652FF52 00FFFFFF
	s_mul_i32 s82, s82, s71                                    // 000000006098: 92524752
	s_mul_i32 s61, s60, s61                                    // 00000000609C: 923D3D3C
	s_add_u32 s82, s82, s61                                    // 0000000060A0: 80523D52
	v_mul_lo_u32 v7, v4, s82                                   // 0000000060A4: D2850007 0000A504
	v_add_u32_e32 v63, v6, v7                                  // 0000000060AC: 687E0F06
	v_readlane_b32 s82, v3, 4                                  // 0000000060B0: D2890052 00010903
	s_lshr_b32 s61, s82, 24                                    // 0000000060B8: 8F3D9852
	s_and_b32 s82, s82, 0xffffff                               // 0000000060BC: 8652FF52 00FFFFFF
	s_mul_i32 s82, s82, s71                                    // 0000000060C4: 92524752
	s_mul_i32 s61, s60, s61                                    // 0000000060C8: 923D3D3C
	s_add_u32 s82, s82, s61                                    // 0000000060CC: 80523D52
	v_mul_lo_u32 v6, v5, s82                                   // 0000000060D0: D2850006 0000A505
	v_readlane_b32 s82, v3, 5                                  // 0000000060D8: D2890052 00010B03
	s_lshr_b32 s61, s82, 24                                    // 0000000060E0: 8F3D9852
	s_and_b32 s82, s82, 0xffffff                               // 0000000060E4: 8652FF52 00FFFFFF
	s_mul_i32 s82, s82, s71                                    // 0000000060EC: 92524752
	s_mul_i32 s61, s60, s61                                    // 0000000060F0: 923D3D3C
	s_add_u32 s82, s82, s61                                    // 0000000060F4: 80523D52
	v_mul_lo_u32 v7, v4, s82                                   // 0000000060F8: D2850007 0000A504
	v_add_u32_e32 v64, v6, v7                                  // 000000006100: 68800F06
	v_readlane_b32 s82, v3, 6                                  // 000000006104: D2890052 00010D03
	s_lshr_b32 s61, s82, 24                                    // 00000000610C: 8F3D9852
	s_and_b32 s82, s82, 0xffffff                               // 000000006110: 8652FF52 00FFFFFF
	s_mul_i32 s82, s82, s71                                    // 000000006118: 92524752
	s_mul_i32 s61, s60, s61                                    // 00000000611C: 923D3D3C
	s_add_u32 s82, s82, s61                                    // 000000006120: 80523D52
	v_mul_lo_u32 v6, v5, s82                                   // 000000006124: D2850006 0000A505
	v_readlane_b32 s82, v3, 7                                  // 00000000612C: D2890052 00010F03
	s_lshr_b32 s61, s82, 24                                    // 000000006134: 8F3D9852
	s_and_b32 s82, s82, 0xffffff                               // 000000006138: 8652FF52 00FFFFFF
	s_mul_i32 s82, s82, s71                                    // 000000006140: 92524752
	s_mul_i32 s61, s60, s61                                    // 000000006144: 923D3D3C
	s_add_u32 s82, s82, s61                                    // 000000006148: 80523D52
	v_mul_lo_u32 v7, v4, s82                                   // 00000000614C: D2850007 0000A504
	v_add_u32_e32 v65, v6, v7                                  // 000000006154: 68820F06
	v_readlane_b32 s82, v3, 8                                  // 000000006158: D2890052 00011103
	s_lshr_b32 s61, s82, 24                                    // 000000006160: 8F3D9852
	s_and_b32 s82, s82, 0xffffff                               // 000000006164: 8652FF52 00FFFFFF
	s_mul_i32 s82, s82, s71                                    // 00000000616C: 92524752
	s_mul_i32 s61, s60, s61                                    // 000000006170: 923D3D3C
	s_add_u32 s82, s82, s61                                    // 000000006174: 80523D52
	v_mul_lo_u32 v6, v5, s82                                   // 000000006178: D2850006 0000A505
	v_readlane_b32 s82, v3, 9                                  // 000000006180: D2890052 00011303
	s_lshr_b32 s61, s82, 24                                    // 000000006188: 8F3D9852
	s_and_b32 s82, s82, 0xffffff                               // 00000000618C: 8652FF52 00FFFFFF
	s_mul_i32 s82, s82, s71                                    // 000000006194: 92524752
	s_mul_i32 s61, s60, s61                                    // 000000006198: 923D3D3C
	s_add_u32 s82, s82, s61                                    // 00000000619C: 80523D52
	v_mul_lo_u32 v7, v4, s82                                   // 0000000061A0: D2850007 0000A504
	v_add_u32_e32 v66, v6, v7                                  // 0000000061A8: 68840F06
	v_readlane_b32 s82, v3, 10                                 // 0000000061AC: D2890052 00011503
	s_lshr_b32 s61, s82, 24                                    // 0000000061B4: 8F3D9852
	s_and_b32 s82, s82, 0xffffff                               // 0000000061B8: 8652FF52 00FFFFFF
	s_mul_i32 s82, s82, s71                                    // 0000000061C0: 92524752
	s_mul_i32 s61, s60, s61                                    // 0000000061C4: 923D3D3C
	s_add_u32 s82, s82, s61                                    // 0000000061C8: 80523D52
	v_mul_lo_u32 v6, v5, s82                                   // 0000000061CC: D2850006 0000A505
	v_readlane_b32 s82, v3, 11                                 // 0000000061D4: D2890052 00011703
	s_lshr_b32 s61, s82, 24                                    // 0000000061DC: 8F3D9852
	s_and_b32 s82, s82, 0xffffff                               // 0000000061E0: 8652FF52 00FFFFFF
	s_mul_i32 s82, s82, s71                                    // 0000000061E8: 92524752
	s_mul_i32 s61, s60, s61                                    // 0000000061EC: 923D3D3C
	s_add_u32 s82, s82, s61                                    // 0000000061F0: 80523D52
	v_mul_lo_u32 v7, v4, s82                                   // 0000000061F4: D2850007 0000A504
	v_add_u32_e32 v67, v6, v7                                  // 0000000061FC: 68860F06
	v_readlane_b32 s82, v3, 12                                 // 000000006200: D2890052 00011903
	s_lshr_b32 s61, s82, 24                                    // 000000006208: 8F3D9852
	s_and_b32 s82, s82, 0xffffff                               // 00000000620C: 8652FF52 00FFFFFF
	s_mul_i32 s82, s82, s71                                    // 000000006214: 92524752
	s_mul_i32 s61, s60, s61                                    // 000000006218: 923D3D3C
	s_add_u32 s82, s82, s61                                    // 00000000621C: 80523D52
	v_mul_lo_u32 v6, v5, s82                                   // 000000006220: D2850006 0000A505
	v_readlane_b32 s82, v3, 13                                 // 000000006228: D2890052 00011B03
	s_lshr_b32 s61, s82, 24                                    // 000000006230: 8F3D9852
	s_and_b32 s82, s82, 0xffffff                               // 000000006234: 8652FF52 00FFFFFF
	s_mul_i32 s82, s82, s71                                    // 00000000623C: 92524752
	s_mul_i32 s61, s60, s61                                    // 000000006240: 923D3D3C
	s_add_u32 s82, s82, s61                                    // 000000006244: 80523D52
	v_mul_lo_u32 v7, v4, s82                                   // 000000006248: D2850007 0000A504
	v_add_u32_e32 v68, v6, v7                                  // 000000006250: 68880F06
	v_readlane_b32 s82, v3, 14                                 // 000000006254: D2890052 00011D03
	s_lshr_b32 s61, s82, 24                                    // 00000000625C: 8F3D9852
	s_and_b32 s82, s82, 0xffffff                               // 000000006260: 8652FF52 00FFFFFF
	s_mul_i32 s82, s82, s71                                    // 000000006268: 92524752
	s_mul_i32 s61, s60, s61                                    // 00000000626C: 923D3D3C
	s_add_u32 s82, s82, s61                                    // 000000006270: 80523D52
	v_mul_lo_u32 v6, v5, s82                                   // 000000006274: D2850006 0000A505
	v_readlane_b32 s82, v3, 15                                 // 00000000627C: D2890052 00011F03
	s_lshr_b32 s61, s82, 24                                    // 000000006284: 8F3D9852
	s_and_b32 s82, s82, 0xffffff                               // 000000006288: 8652FF52 00FFFFFF
	s_mul_i32 s82, s82, s71                                    // 000000006290: 92524752
	s_mul_i32 s61, s60, s61                                    // 000000006294: 923D3D3C
	s_add_u32 s82, s82, s61                                    // 000000006298: 80523D52
	v_mul_lo_u32 v7, v4, s82                                   // 00000000629C: D2850007 0000A504
	v_add_u32_e32 v69, v6, v7                                  // 0000000062A4: 688A0F06
	v_readlane_b32 s82, v3, 16                                 // 0000000062A8: D2890052 00012103
	s_lshr_b32 s61, s82, 24                                    // 0000000062B0: 8F3D9852
	s_and_b32 s82, s82, 0xffffff                               // 0000000062B4: 8652FF52 00FFFFFF
	s_mul_i32 s82, s82, s71                                    // 0000000062BC: 92524752
	s_mul_i32 s61, s60, s61                                    // 0000000062C0: 923D3D3C
	s_add_u32 s82, s82, s61                                    // 0000000062C4: 80523D52
	v_mul_lo_u32 v6, v5, s82                                   // 0000000062C8: D2850006 0000A505
	v_readlane_b32 s82, v3, 17                                 // 0000000062D0: D2890052 00012303
	s_lshr_b32 s61, s82, 24                                    // 0000000062D8: 8F3D9852
	s_and_b32 s82, s82, 0xffffff                               // 0000000062DC: 8652FF52 00FFFFFF
	s_mul_i32 s82, s82, s71                                    // 0000000062E4: 92524752
	s_mul_i32 s61, s60, s61                                    // 0000000062E8: 923D3D3C
	s_add_u32 s82, s82, s61                                    // 0000000062EC: 80523D52
	v_mul_lo_u32 v7, v4, s82                                   // 0000000062F0: D2850007 0000A504
	v_add_u32_e32 v70, v6, v7                                  // 0000000062F8: 688C0F06
	v_readlane_b32 s82, v3, 18                                 // 0000000062FC: D2890052 00012503
	s_lshr_b32 s61, s82, 24                                    // 000000006304: 8F3D9852
	s_and_b32 s82, s82, 0xffffff                               // 000000006308: 8652FF52 00FFFFFF
	s_mul_i32 s82, s82, s71                                    // 000000006310: 92524752
	s_mul_i32 s61, s60, s61                                    // 000000006314: 923D3D3C
	s_add_u32 s82, s82, s61                                    // 000000006318: 80523D52
	v_mul_lo_u32 v6, v5, s82                                   // 00000000631C: D2850006 0000A505
	v_readlane_b32 s82, v3, 19                                 // 000000006324: D2890052 00012703
	s_lshr_b32 s61, s82, 24                                    // 00000000632C: 8F3D9852
	s_and_b32 s82, s82, 0xffffff                               // 000000006330: 8652FF52 00FFFFFF
	s_mul_i32 s82, s82, s71                                    // 000000006338: 92524752
	s_mul_i32 s61, s60, s61                                    // 00000000633C: 923D3D3C
	s_add_u32 s82, s82, s61                                    // 000000006340: 80523D52
	v_mul_lo_u32 v7, v4, s82                                   // 000000006344: D2850007 0000A504
	v_add_u32_e32 v71, v6, v7                                  // 00000000634C: 688E0F06
	v_readlane_b32 s82, v3, 20                                 // 000000006350: D2890052 00012903
	s_lshr_b32 s61, s82, 24                                    // 000000006358: 8F3D9852
	s_and_b32 s82, s82, 0xffffff                               // 00000000635C: 8652FF52 00FFFFFF
	s_mul_i32 s82, s82, s71                                    // 000000006364: 92524752
	s_mul_i32 s61, s60, s61                                    // 000000006368: 923D3D3C
	s_add_u32 s82, s82, s61                                    // 00000000636C: 80523D52
	v_mul_lo_u32 v6, v5, s82                                   // 000000006370: D2850006 0000A505
	v_readlane_b32 s82, v3, 21                                 // 000000006378: D2890052 00012B03
	s_lshr_b32 s61, s82, 24                                    // 000000006380: 8F3D9852
	s_and_b32 s82, s82, 0xffffff                               // 000000006384: 8652FF52 00FFFFFF
	s_mul_i32 s82, s82, s71                                    // 00000000638C: 92524752
	s_mul_i32 s61, s60, s61                                    // 000000006390: 923D3D3C
	s_add_u32 s82, s82, s61                                    // 000000006394: 80523D52
	v_mul_lo_u32 v7, v4, s82                                   // 000000006398: D2850007 0000A504
	v_add_u32_e32 v72, v6, v7                                  // 0000000063A0: 68900F06
	v_readlane_b32 s82, v3, 22                                 // 0000000063A4: D2890052 00012D03
	s_lshr_b32 s61, s82, 24                                    // 0000000063AC: 8F3D9852
	s_and_b32 s82, s82, 0xffffff                               // 0000000063B0: 8652FF52 00FFFFFF
	s_mul_i32 s82, s82, s71                                    // 0000000063B8: 92524752
	s_mul_i32 s61, s60, s61                                    // 0000000063BC: 923D3D3C
	s_add_u32 s82, s82, s61                                    // 0000000063C0: 80523D52
	v_mul_lo_u32 v6, v5, s82                                   // 0000000063C4: D2850006 0000A505
	v_readlane_b32 s82, v3, 23                                 // 0000000063CC: D2890052 00012F03
	s_lshr_b32 s61, s82, 24                                    // 0000000063D4: 8F3D9852
	s_and_b32 s82, s82, 0xffffff                               // 0000000063D8: 8652FF52 00FFFFFF
	s_mul_i32 s82, s82, s71                                    // 0000000063E0: 92524752
	s_mul_i32 s61, s60, s61                                    // 0000000063E4: 923D3D3C
	s_add_u32 s82, s82, s61                                    // 0000000063E8: 80523D52
	v_mul_lo_u32 v7, v4, s82                                   // 0000000063EC: D2850007 0000A504
	v_add_u32_e32 v73, v6, v7                                  // 0000000063F4: 68920F06
	v_readlane_b32 s82, v3, 24                                 // 0000000063F8: D2890052 00013103
	s_lshr_b32 s61, s82, 24                                    // 000000006400: 8F3D9852
	s_and_b32 s82, s82, 0xffffff                               // 000000006404: 8652FF52 00FFFFFF
	s_mul_i32 s82, s82, s71                                    // 00000000640C: 92524752
	s_mul_i32 s61, s60, s61                                    // 000000006410: 923D3D3C
	s_add_u32 s82, s82, s61                                    // 000000006414: 80523D52
	v_mul_lo_u32 v6, v5, s82                                   // 000000006418: D2850006 0000A505
	v_readlane_b32 s82, v3, 25                                 // 000000006420: D2890052 00013303
	s_lshr_b32 s61, s82, 24                                    // 000000006428: 8F3D9852
	s_and_b32 s82, s82, 0xffffff                               // 00000000642C: 8652FF52 00FFFFFF
	s_mul_i32 s82, s82, s71                                    // 000000006434: 92524752
	s_mul_i32 s61, s60, s61                                    // 000000006438: 923D3D3C
	s_add_u32 s82, s82, s61                                    // 00000000643C: 80523D52
	v_mul_lo_u32 v7, v4, s82                                   // 000000006440: D2850007 0000A504
	v_add_u32_e32 v74, v6, v7                                  // 000000006448: 68940F06
	v_readlane_b32 s82, v3, 26                                 // 00000000644C: D2890052 00013503
	s_lshr_b32 s61, s82, 24                                    // 000000006454: 8F3D9852
	s_and_b32 s82, s82, 0xffffff                               // 000000006458: 8652FF52 00FFFFFF
	s_mul_i32 s82, s82, s71                                    // 000000006460: 92524752
	s_mul_i32 s61, s60, s61                                    // 000000006464: 923D3D3C
	s_add_u32 s82, s82, s61                                    // 000000006468: 80523D52
	v_mul_lo_u32 v6, v5, s82                                   // 00000000646C: D2850006 0000A505
	v_readlane_b32 s82, v3, 27                                 // 000000006474: D2890052 00013703
	s_lshr_b32 s61, s82, 24                                    // 00000000647C: 8F3D9852
	s_and_b32 s82, s82, 0xffffff                               // 000000006480: 8652FF52 00FFFFFF
	s_mul_i32 s82, s82, s71                                    // 000000006488: 92524752
	s_mul_i32 s61, s60, s61                                    // 00000000648C: 923D3D3C
	s_add_u32 s82, s82, s61                                    // 000000006490: 80523D52
	v_mul_lo_u32 v7, v4, s82                                   // 000000006494: D2850007 0000A504
	v_add_u32_e32 v75, v6, v7                                  // 00000000649C: 68960F06
	v_readlane_b32 s82, v3, 28                                 // 0000000064A0: D2890052 00013903
	s_lshr_b32 s61, s82, 24                                    // 0000000064A8: 8F3D9852
	s_and_b32 s82, s82, 0xffffff                               // 0000000064AC: 8652FF52 00FFFFFF
	s_mul_i32 s82, s82, s71                                    // 0000000064B4: 92524752
	s_mul_i32 s61, s60, s61                                    // 0000000064B8: 923D3D3C
	s_add_u32 s82, s82, s61                                    // 0000000064BC: 80523D52
	v_mul_lo_u32 v6, v5, s82                                   // 0000000064C0: D2850006 0000A505
	v_readlane_b32 s82, v3, 29                                 // 0000000064C8: D2890052 00013B03
	s_lshr_b32 s61, s82, 24                                    // 0000000064D0: 8F3D9852
	s_and_b32 s82, s82, 0xffffff                               // 0000000064D4: 8652FF52 00FFFFFF
	s_mul_i32 s82, s82, s71                                    // 0000000064DC: 92524752
	s_mul_i32 s61, s60, s61                                    // 0000000064E0: 923D3D3C
	s_add_u32 s82, s82, s61                                    // 0000000064E4: 80523D52
	v_mul_lo_u32 v7, v4, s82                                   // 0000000064E8: D2850007 0000A504
	v_add_u32_e32 v76, v6, v7                                  // 0000000064F0: 68980F06
	v_readlane_b32 s82, v3, 30                                 // 0000000064F4: D2890052 00013D03
	s_lshr_b32 s61, s82, 24                                    // 0000000064FC: 8F3D9852
	s_and_b32 s82, s82, 0xffffff                               // 000000006500: 8652FF52 00FFFFFF
	s_mul_i32 s82, s82, s71                                    // 000000006508: 92524752
	s_mul_i32 s61, s60, s61                                    // 00000000650C: 923D3D3C
	s_add_u32 s82, s82, s61                                    // 000000006510: 80523D52
	v_mul_lo_u32 v6, v5, s82                                   // 000000006514: D2850006 0000A505
	v_readlane_b32 s82, v3, 31                                 // 00000000651C: D2890052 00013F03
	s_lshr_b32 s61, s82, 24                                    // 000000006524: 8F3D9852
	s_and_b32 s82, s82, 0xffffff                               // 000000006528: 8652FF52 00FFFFFF
	s_mul_i32 s82, s82, s71                                    // 000000006530: 92524752
	s_mul_i32 s61, s60, s61                                    // 000000006534: 923D3D3C
	s_add_u32 s82, s82, s61                                    // 000000006538: 80523D52
	v_mul_lo_u32 v7, v4, s82                                   // 00000000653C: D2850007 0000A504
	v_add_u32_e32 v77, v6, v7                                  // 000000006544: 689A0F06
	v_and_b32_e32 v4, 31, v0                                   // 000000006548: 2608009F
	v_lshrrev_b32_e32 v4, 1, v4                                // 00000000654C: 20080881
	s_cmp_eq_u32 s88, 0                                        // 000000006550: BF068058
	s_cselect_b32 s61, 2, 4                                    // 000000006554: 853D8482
	v_mul_lo_u32 v4, v4, s61                                   // 000000006558: D2850004 00007B04
	v_and_b32_e64 v5, v0, 1                                    // 000000006560: D1130005 00010300
	v_add_u32_e32 v4, v4, v5                                   // 000000006568: 68080B04
	v_lshlrev_b32_e32 v4, 2, v4                                // 00000000656C: 24080882
	v_add_u32_e32 v62, v62, v4                                 // 000000006570: 687C093E
	v_add_u32_e32 v63, v63, v4                                 // 000000006574: 687E093F
	v_add_u32_e32 v64, v64, v4                                 // 000000006578: 68800940
	v_add_u32_e32 v65, v65, v4                                 // 00000000657C: 68820941
	v_add_u32_e32 v66, v66, v4                                 // 000000006580: 68840942
	v_add_u32_e32 v67, v67, v4                                 // 000000006584: 68860943
	;; [unrolled: 1-line block ×3, first 2 shown]
	v_add_u32_e32 v69, v69, v4                                 // 00000000658C: 688A0945
	v_add_u32_e32 v70, v70, v4                                 // 000000006590: 688C0946
	v_add_u32_e32 v71, v71, v4                                 // 000000006594: 688E0947
	v_add_u32_e32 v72, v72, v4                                 // 000000006598: 68900948
	v_add_u32_e32 v73, v73, v4                                 // 00000000659C: 68920949
	v_add_u32_e32 v74, v74, v4                                 // 0000000065A0: 6894094A
	v_add_u32_e32 v75, v75, v4                                 // 0000000065A4: 6896094B
	v_add_u32_e32 v76, v76, v4                                 // 0000000065A8: 6898094C
	v_add_u32_e32 v77, v77, v4                                 // 0000000065AC: 689A094D
	s_waitcnt lgkmcnt(0)                                       // 0000000065B0: BF8CC07F
	s_barrier                                                  // 0000000065B4: BF8A0000
	ds_read_b32 v80, v21                                       // 0000000065B8: D86C0000 50000015
	ds_read_b32 v81, v21 offset:64                             // 0000000065C0: D86C0040 51000015
	ds_read_b32 v82, v21 offset:2176                           // 0000000065C8: D86C0880 52000015
	ds_read_b32 v83, v21 offset:2240                           // 0000000065D0: D86C08C0 53000015
	ds_read_b32 v84, v21 offset:4352                           // 0000000065D8: D86C1100 54000015
	ds_read_b32 v85, v21 offset:4416                           // 0000000065E0: D86C1140 55000015
	ds_read_b32 v86, v21 offset:6528                           // 0000000065E8: D86C1980 56000015
	ds_read_b32 v87, v21 offset:6592                           // 0000000065F0: D86C19C0 57000015
	ds_read_b32 v88, v21 offset:8704                           // 0000000065F8: D86C2200 58000015
	ds_read_b32 v89, v21 offset:8768                           // 000000006600: D86C2240 59000015
	ds_read_b32 v90, v21 offset:10880                          // 000000006608: D86C2A80 5A000015
	ds_read_b32 v91, v21 offset:10944                          // 000000006610: D86C2AC0 5B000015
	ds_read_b32 v92, v21 offset:13056                          // 000000006618: D86C3300 5C000015
	ds_read_b32 v93, v21 offset:13120                          // 000000006620: D86C3340 5D000015
	ds_read_b32 v94, v21 offset:15232                          // 000000006628: D86C3B80 5E000015
	ds_read_b32 v95, v21 offset:15296                          // 000000006630: D86C3BC0 5F000015
	s_waitcnt lgkmcnt(0)                                       // 000000006638: BF8CC07F
	s_mov_b32 s36, -1                                          // 00000000663C: BEA400C1
	s_mov_b32 s37, -1                                          // 000000006640: BEA500C1
	v_mov_b32_e32 v7, 0                                        // 000000006644: 7E0E0280
	s_or_b32 s9, s9, 0x40000                                   // 000000006648: 8709FF09 00040000
	s_mov_b64 exec, s[36:37]                                   // 000000006650: BEFE0124
	v_mov_b32_e32 v6, v62                                      // 000000006654: 7E0C033E
	s_mov_b64 s[60:61], 0                                      // 000000006658: BEBC0180
	v_readlane_b32 s82, v3, 0                                  // 00000000665C: D2890052 00010103
	s_and_b32 s82, s82, 0xffffff                               // 000000006664: 8652FF52 00FFFFFF
	s_cmp_lt_u32 s82, s66                                      // 00000000666C: BF0A4252
	s_cselect_b32 s20, s36, s60                                // 000000006670: 85143C24
	v_readlane_b32 s82, v3, 1                                  // 000000006674: D2890052 00010303
	s_and_b32 s82, s82, 0xffffff                               // 00000000667C: 8652FF52 00FFFFFF
	s_cmp_lt_u32 s82, s66                                      // 000000006684: BF0A4252
	s_cselect_b32 s21, s36, s60                                // 000000006688: 85153C24
	s_mov_b64 exec, s[20:21]                                   // 00000000668C: BEFE0114
	buffer_store_dword v80, v6, s[8:11], 0 offen               // 000000006690: E0701000 80025006
	s_mov_b64 exec, s[36:37]                                   // 000000006698: BEFE0124
	v_mov_b32_e32 v6, v63                                      // 00000000669C: 7E0C033F
	s_mov_b64 s[60:61], 0                                      // 0000000066A0: BEBC0180
	v_readlane_b32 s82, v3, 2                                  // 0000000066A4: D2890052 00010503
	s_and_b32 s82, s82, 0xffffff                               // 0000000066AC: 8652FF52 00FFFFFF
	s_cmp_lt_u32 s82, s66                                      // 0000000066B4: BF0A4252
	s_cselect_b32 s20, s36, s60                                // 0000000066B8: 85143C24
	v_readlane_b32 s82, v3, 3                                  // 0000000066BC: D2890052 00010703
	s_and_b32 s82, s82, 0xffffff                               // 0000000066C4: 8652FF52 00FFFFFF
	s_cmp_lt_u32 s82, s66                                      // 0000000066CC: BF0A4252
	s_cselect_b32 s21, s36, s60                                // 0000000066D0: 85153C24
	s_mov_b64 exec, s[20:21]                                   // 0000000066D4: BEFE0114
	buffer_store_dword v81, v6, s[8:11], 0 offen               // 0000000066D8: E0701000 80025106
	s_mov_b64 exec, s[36:37]                                   // 0000000066E0: BEFE0124
	v_mov_b32_e32 v6, v64                                      // 0000000066E4: 7E0C0340
	s_mov_b64 s[60:61], 0                                      // 0000000066E8: BEBC0180
	v_readlane_b32 s82, v3, 4                                  // 0000000066EC: D2890052 00010903
	s_and_b32 s82, s82, 0xffffff                               // 0000000066F4: 8652FF52 00FFFFFF
	s_cmp_lt_u32 s82, s66                                      // 0000000066FC: BF0A4252
	s_cselect_b32 s20, s36, s60                                // 000000006700: 85143C24
	v_readlane_b32 s82, v3, 5                                  // 000000006704: D2890052 00010B03
	s_and_b32 s82, s82, 0xffffff                               // 00000000670C: 8652FF52 00FFFFFF
	s_cmp_lt_u32 s82, s66                                      // 000000006714: BF0A4252
	s_cselect_b32 s21, s36, s60                                // 000000006718: 85153C24
	s_mov_b64 exec, s[20:21]                                   // 00000000671C: BEFE0114
	buffer_store_dword v82, v6, s[8:11], 0 offen               // 000000006720: E0701000 80025206
	s_mov_b64 exec, s[36:37]                                   // 000000006728: BEFE0124
	v_mov_b32_e32 v6, v65                                      // 00000000672C: 7E0C0341
	s_mov_b64 s[60:61], 0                                      // 000000006730: BEBC0180
	v_readlane_b32 s82, v3, 6                                  // 000000006734: D2890052 00010D03
	s_and_b32 s82, s82, 0xffffff                               // 00000000673C: 8652FF52 00FFFFFF
	s_cmp_lt_u32 s82, s66                                      // 000000006744: BF0A4252
	s_cselect_b32 s20, s36, s60                                // 000000006748: 85143C24
	v_readlane_b32 s82, v3, 7                                  // 00000000674C: D2890052 00010F03
	s_and_b32 s82, s82, 0xffffff                               // 000000006754: 8652FF52 00FFFFFF
	s_cmp_lt_u32 s82, s66                                      // 00000000675C: BF0A4252
	s_cselect_b32 s21, s36, s60                                // 000000006760: 85153C24
	s_mov_b64 exec, s[20:21]                                   // 000000006764: BEFE0114
	buffer_store_dword v83, v6, s[8:11], 0 offen               // 000000006768: E0701000 80025306
	s_mov_b64 exec, s[36:37]                                   // 000000006770: BEFE0124
	v_mov_b32_e32 v6, v66                                      // 000000006774: 7E0C0342
	s_mov_b64 s[60:61], 0                                      // 000000006778: BEBC0180
	v_readlane_b32 s82, v3, 8                                  // 00000000677C: D2890052 00011103
	s_and_b32 s82, s82, 0xffffff                               // 000000006784: 8652FF52 00FFFFFF
	s_cmp_lt_u32 s82, s66                                      // 00000000678C: BF0A4252
	s_cselect_b32 s20, s36, s60                                // 000000006790: 85143C24
	v_readlane_b32 s82, v3, 9                                  // 000000006794: D2890052 00011303
	s_and_b32 s82, s82, 0xffffff                               // 00000000679C: 8652FF52 00FFFFFF
	s_cmp_lt_u32 s82, s66                                      // 0000000067A4: BF0A4252
	s_cselect_b32 s21, s36, s60                                // 0000000067A8: 85153C24
	s_mov_b64 exec, s[20:21]                                   // 0000000067AC: BEFE0114
	buffer_store_dword v84, v6, s[8:11], 0 offen               // 0000000067B0: E0701000 80025406
	s_mov_b64 exec, s[36:37]                                   // 0000000067B8: BEFE0124
	v_mov_b32_e32 v6, v67                                      // 0000000067BC: 7E0C0343
	s_mov_b64 s[60:61], 0                                      // 0000000067C0: BEBC0180
	v_readlane_b32 s82, v3, 10                                 // 0000000067C4: D2890052 00011503
	s_and_b32 s82, s82, 0xffffff                               // 0000000067CC: 8652FF52 00FFFFFF
	s_cmp_lt_u32 s82, s66                                      // 0000000067D4: BF0A4252
	s_cselect_b32 s20, s36, s60                                // 0000000067D8: 85143C24
	v_readlane_b32 s82, v3, 11                                 // 0000000067DC: D2890052 00011703
	s_and_b32 s82, s82, 0xffffff                               // 0000000067E4: 8652FF52 00FFFFFF
	s_cmp_lt_u32 s82, s66                                      // 0000000067EC: BF0A4252
	s_cselect_b32 s21, s36, s60                                // 0000000067F0: 85153C24
	s_mov_b64 exec, s[20:21]                                   // 0000000067F4: BEFE0114
	buffer_store_dword v85, v6, s[8:11], 0 offen               // 0000000067F8: E0701000 80025506
	s_mov_b64 exec, s[36:37]                                   // 000000006800: BEFE0124
	v_mov_b32_e32 v6, v68                                      // 000000006804: 7E0C0344
	s_mov_b64 s[60:61], 0                                      // 000000006808: BEBC0180
	v_readlane_b32 s82, v3, 12                                 // 00000000680C: D2890052 00011903
	s_and_b32 s82, s82, 0xffffff                               // 000000006814: 8652FF52 00FFFFFF
	s_cmp_lt_u32 s82, s66                                      // 00000000681C: BF0A4252
	s_cselect_b32 s20, s36, s60                                // 000000006820: 85143C24
	v_readlane_b32 s82, v3, 13                                 // 000000006824: D2890052 00011B03
	s_and_b32 s82, s82, 0xffffff                               // 00000000682C: 8652FF52 00FFFFFF
	s_cmp_lt_u32 s82, s66                                      // 000000006834: BF0A4252
	s_cselect_b32 s21, s36, s60                                // 000000006838: 85153C24
	s_mov_b64 exec, s[20:21]                                   // 00000000683C: BEFE0114
	buffer_store_dword v86, v6, s[8:11], 0 offen               // 000000006840: E0701000 80025606
	s_mov_b64 exec, s[36:37]                                   // 000000006848: BEFE0124
	v_mov_b32_e32 v6, v69                                      // 00000000684C: 7E0C0345
	s_mov_b64 s[60:61], 0                                      // 000000006850: BEBC0180
	v_readlane_b32 s82, v3, 14                                 // 000000006854: D2890052 00011D03
	s_and_b32 s82, s82, 0xffffff                               // 00000000685C: 8652FF52 00FFFFFF
	s_cmp_lt_u32 s82, s66                                      // 000000006864: BF0A4252
	s_cselect_b32 s20, s36, s60                                // 000000006868: 85143C24
	v_readlane_b32 s82, v3, 15                                 // 00000000686C: D2890052 00011F03
	s_and_b32 s82, s82, 0xffffff                               // 000000006874: 8652FF52 00FFFFFF
	s_cmp_lt_u32 s82, s66                                      // 00000000687C: BF0A4252
	s_cselect_b32 s21, s36, s60                                // 000000006880: 85153C24
	s_mov_b64 exec, s[20:21]                                   // 000000006884: BEFE0114
	buffer_store_dword v87, v6, s[8:11], 0 offen               // 000000006888: E0701000 80025706
	s_mov_b64 exec, s[36:37]                                   // 000000006890: BEFE0124
	v_mov_b32_e32 v6, v70                                      // 000000006894: 7E0C0346
	s_mov_b64 s[60:61], 0                                      // 000000006898: BEBC0180
	v_readlane_b32 s82, v3, 16                                 // 00000000689C: D2890052 00012103
	s_and_b32 s82, s82, 0xffffff                               // 0000000068A4: 8652FF52 00FFFFFF
	s_cmp_lt_u32 s82, s66                                      // 0000000068AC: BF0A4252
	s_cselect_b32 s20, s36, s60                                // 0000000068B0: 85143C24
	v_readlane_b32 s82, v3, 17                                 // 0000000068B4: D2890052 00012303
	s_and_b32 s82, s82, 0xffffff                               // 0000000068BC: 8652FF52 00FFFFFF
	s_cmp_lt_u32 s82, s66                                      // 0000000068C4: BF0A4252
	s_cselect_b32 s21, s36, s60                                // 0000000068C8: 85153C24
	s_mov_b64 exec, s[20:21]                                   // 0000000068CC: BEFE0114
	buffer_store_dword v88, v6, s[8:11], 0 offen               // 0000000068D0: E0701000 80025806
	s_mov_b64 exec, s[36:37]                                   // 0000000068D8: BEFE0124
	v_mov_b32_e32 v6, v71                                      // 0000000068DC: 7E0C0347
	s_mov_b64 s[60:61], 0                                      // 0000000068E0: BEBC0180
	v_readlane_b32 s82, v3, 18                                 // 0000000068E4: D2890052 00012503
	s_and_b32 s82, s82, 0xffffff                               // 0000000068EC: 8652FF52 00FFFFFF
	s_cmp_lt_u32 s82, s66                                      // 0000000068F4: BF0A4252
	s_cselect_b32 s20, s36, s60                                // 0000000068F8: 85143C24
	v_readlane_b32 s82, v3, 19                                 // 0000000068FC: D2890052 00012703
	s_and_b32 s82, s82, 0xffffff                               // 000000006904: 8652FF52 00FFFFFF
	s_cmp_lt_u32 s82, s66                                      // 00000000690C: BF0A4252
	s_cselect_b32 s21, s36, s60                                // 000000006910: 85153C24
	s_mov_b64 exec, s[20:21]                                   // 000000006914: BEFE0114
	buffer_store_dword v89, v6, s[8:11], 0 offen               // 000000006918: E0701000 80025906
	s_mov_b64 exec, s[36:37]                                   // 000000006920: BEFE0124
	v_mov_b32_e32 v6, v72                                      // 000000006924: 7E0C0348
	s_mov_b64 s[60:61], 0                                      // 000000006928: BEBC0180
	v_readlane_b32 s82, v3, 20                                 // 00000000692C: D2890052 00012903
	s_and_b32 s82, s82, 0xffffff                               // 000000006934: 8652FF52 00FFFFFF
	s_cmp_lt_u32 s82, s66                                      // 00000000693C: BF0A4252
	s_cselect_b32 s20, s36, s60                                // 000000006940: 85143C24
	v_readlane_b32 s82, v3, 21                                 // 000000006944: D2890052 00012B03
	s_and_b32 s82, s82, 0xffffff                               // 00000000694C: 8652FF52 00FFFFFF
	s_cmp_lt_u32 s82, s66                                      // 000000006954: BF0A4252
	s_cselect_b32 s21, s36, s60                                // 000000006958: 85153C24
	s_mov_b64 exec, s[20:21]                                   // 00000000695C: BEFE0114
	buffer_store_dword v90, v6, s[8:11], 0 offen               // 000000006960: E0701000 80025A06
	s_mov_b64 exec, s[36:37]                                   // 000000006968: BEFE0124
	v_mov_b32_e32 v6, v73                                      // 00000000696C: 7E0C0349
	s_mov_b64 s[60:61], 0                                      // 000000006970: BEBC0180
	v_readlane_b32 s82, v3, 22                                 // 000000006974: D2890052 00012D03
	s_and_b32 s82, s82, 0xffffff                               // 00000000697C: 8652FF52 00FFFFFF
	s_cmp_lt_u32 s82, s66                                      // 000000006984: BF0A4252
	s_cselect_b32 s20, s36, s60                                // 000000006988: 85143C24
	v_readlane_b32 s82, v3, 23                                 // 00000000698C: D2890052 00012F03
	s_and_b32 s82, s82, 0xffffff                               // 000000006994: 8652FF52 00FFFFFF
	s_cmp_lt_u32 s82, s66                                      // 00000000699C: BF0A4252
	s_cselect_b32 s21, s36, s60                                // 0000000069A0: 85153C24
	s_mov_b64 exec, s[20:21]                                   // 0000000069A4: BEFE0114
	buffer_store_dword v91, v6, s[8:11], 0 offen               // 0000000069A8: E0701000 80025B06
	s_mov_b64 exec, s[36:37]                                   // 0000000069B0: BEFE0124
	v_mov_b32_e32 v6, v74                                      // 0000000069B4: 7E0C034A
	s_mov_b64 s[60:61], 0                                      // 0000000069B8: BEBC0180
	v_readlane_b32 s82, v3, 24                                 // 0000000069BC: D2890052 00013103
	s_and_b32 s82, s82, 0xffffff                               // 0000000069C4: 8652FF52 00FFFFFF
	s_cmp_lt_u32 s82, s66                                      // 0000000069CC: BF0A4252
	s_cselect_b32 s20, s36, s60                                // 0000000069D0: 85143C24
	v_readlane_b32 s82, v3, 25                                 // 0000000069D4: D2890052 00013303
	s_and_b32 s82, s82, 0xffffff                               // 0000000069DC: 8652FF52 00FFFFFF
	s_cmp_lt_u32 s82, s66                                      // 0000000069E4: BF0A4252
	s_cselect_b32 s21, s36, s60                                // 0000000069E8: 85153C24
	s_mov_b64 exec, s[20:21]                                   // 0000000069EC: BEFE0114
	buffer_store_dword v92, v6, s[8:11], 0 offen               // 0000000069F0: E0701000 80025C06
	s_mov_b64 exec, s[36:37]                                   // 0000000069F8: BEFE0124
	v_mov_b32_e32 v6, v75                                      // 0000000069FC: 7E0C034B
	s_mov_b64 s[60:61], 0                                      // 000000006A00: BEBC0180
	v_readlane_b32 s82, v3, 26                                 // 000000006A04: D2890052 00013503
	s_and_b32 s82, s82, 0xffffff                               // 000000006A0C: 8652FF52 00FFFFFF
	s_cmp_lt_u32 s82, s66                                      // 000000006A14: BF0A4252
	s_cselect_b32 s20, s36, s60                                // 000000006A18: 85143C24
	v_readlane_b32 s82, v3, 27                                 // 000000006A1C: D2890052 00013703
	s_and_b32 s82, s82, 0xffffff                               // 000000006A24: 8652FF52 00FFFFFF
	s_cmp_lt_u32 s82, s66                                      // 000000006A2C: BF0A4252
	s_cselect_b32 s21, s36, s60                                // 000000006A30: 85153C24
	s_mov_b64 exec, s[20:21]                                   // 000000006A34: BEFE0114
	buffer_store_dword v93, v6, s[8:11], 0 offen               // 000000006A38: E0701000 80025D06
	s_mov_b64 exec, s[36:37]                                   // 000000006A40: BEFE0124
	v_mov_b32_e32 v6, v76                                      // 000000006A44: 7E0C034C
	s_mov_b64 s[60:61], 0                                      // 000000006A48: BEBC0180
	v_readlane_b32 s82, v3, 28                                 // 000000006A4C: D2890052 00013903
	s_and_b32 s82, s82, 0xffffff                               // 000000006A54: 8652FF52 00FFFFFF
	s_cmp_lt_u32 s82, s66                                      // 000000006A5C: BF0A4252
	s_cselect_b32 s20, s36, s60                                // 000000006A60: 85143C24
	v_readlane_b32 s82, v3, 29                                 // 000000006A64: D2890052 00013B03
	s_and_b32 s82, s82, 0xffffff                               // 000000006A6C: 8652FF52 00FFFFFF
	s_cmp_lt_u32 s82, s66                                      // 000000006A74: BF0A4252
	s_cselect_b32 s21, s36, s60                                // 000000006A78: 85153C24
	s_mov_b64 exec, s[20:21]                                   // 000000006A7C: BEFE0114
	buffer_store_dword v94, v6, s[8:11], 0 offen               // 000000006A80: E0701000 80025E06
	s_mov_b64 exec, s[36:37]                                   // 000000006A88: BEFE0124
	v_mov_b32_e32 v6, v77                                      // 000000006A8C: 7E0C034D
	s_mov_b64 s[60:61], 0                                      // 000000006A90: BEBC0180
	v_readlane_b32 s82, v3, 30                                 // 000000006A94: D2890052 00013D03
	s_and_b32 s82, s82, 0xffffff                               // 000000006A9C: 8652FF52 00FFFFFF
	s_cmp_lt_u32 s82, s66                                      // 000000006AA4: BF0A4252
	s_cselect_b32 s20, s36, s60                                // 000000006AA8: 85143C24
	v_readlane_b32 s82, v3, 31                                 // 000000006AAC: D2890052 00013F03
	s_and_b32 s82, s82, 0xffffff                               // 000000006AB4: 8652FF52 00FFFFFF
	s_cmp_lt_u32 s82, s66                                      // 000000006ABC: BF0A4252
	s_cselect_b32 s21, s36, s60                                // 000000006AC0: 85153C24
	s_mov_b64 exec, s[20:21]                                   // 000000006AC4: BEFE0114
	buffer_store_dword v95, v6, s[8:11], 0 offen               // 000000006AC8: E0701000 80025F06
	s_mov_b64 exec, s[36:37]                                   // 000000006AD0: BEFE0124
	s_branch label_2A93                                        // 000000006AD4: BF821A5A

0000000000006ad8 <label_1036>:
	ds_write_b64 v20, v[80:81]                                 // 000000006AD8: D89A0000 00005014
	ds_write_b64 v20, v[84:85] offset:2176                     // 000000006AE0: D89A0880 00005414
	ds_write_b64 v20, v[88:89] offset:4352                     // 000000006AE8: D89A1100 00005814
	ds_write_b64 v20, v[92:93] offset:6528                     // 000000006AF0: D89A1980 00005C14
	ds_write_b64 v20, v[96:97] offset:8704                     // 000000006AF8: D89A2200 00006014
	ds_write_b64 v20, v[100:101] offset:10880                  // 000000006B00: D89A2A80 00006414
	ds_write_b64 v20, v[104:105] offset:13056                  // 000000006B08: D89A3300 00006814
	ds_write_b64 v20, v[108:109] offset:15232                  // 000000006B10: D89A3B80 00006C14
	v_lshrrev_b32_e32 v4, 5, v0                                // 000000006B18: 20080085
	v_xor_b32_e32 v5, 1, v4                                    // 000000006B1C: 2A0A0881
	s_mul_i32 s60, s65, 2                                      // 000000006B20: 923C8241
	s_cmp_eq_u32 s88, 0                                        // 000000006B24: BF068058
	s_cselect_b32 s61, 1, 4                                    // 000000006B28: 853D8481
	s_mul_i32 s60, s61, s60                                    // 000000006B2C: 923C3C3D
	v_readlane_b32 s82, v3, 0                                  // 000000006B30: D2890052 00010103
	s_lshr_b32 s61, s82, 24                                    // 000000006B38: 8F3D9852
	s_and_b32 s82, s82, 0xffffff                               // 000000006B3C: 8652FF52 00FFFFFF
	s_mul_i32 s82, s82, s71                                    // 000000006B44: 92524752
	s_mul_i32 s61, s60, s61                                    // 000000006B48: 923D3D3C
	s_add_u32 s82, s82, s61                                    // 000000006B4C: 80523D52
	v_mul_lo_u32 v6, v5, s82                                   // 000000006B50: D2850006 0000A505
	v_readlane_b32 s82, v3, 1                                  // 000000006B58: D2890052 00010303
	s_lshr_b32 s61, s82, 24                                    // 000000006B60: 8F3D9852
	s_and_b32 s82, s82, 0xffffff                               // 000000006B64: 8652FF52 00FFFFFF
	s_mul_i32 s82, s82, s71                                    // 000000006B6C: 92524752
	s_mul_i32 s61, s60, s61                                    // 000000006B70: 923D3D3C
	s_add_u32 s82, s82, s61                                    // 000000006B74: 80523D52
	v_mul_lo_u32 v7, v4, s82                                   // 000000006B78: D2850007 0000A504
	v_add_u32_e32 v62, v6, v7                                  // 000000006B80: 687C0F06
	v_readlane_b32 s82, v3, 2                                  // 000000006B84: D2890052 00010503
	s_lshr_b32 s61, s82, 24                                    // 000000006B8C: 8F3D9852
	s_and_b32 s82, s82, 0xffffff                               // 000000006B90: 8652FF52 00FFFFFF
	s_mul_i32 s82, s82, s71                                    // 000000006B98: 92524752
	s_mul_i32 s61, s60, s61                                    // 000000006B9C: 923D3D3C
	s_add_u32 s82, s82, s61                                    // 000000006BA0: 80523D52
	v_mul_lo_u32 v6, v5, s82                                   // 000000006BA4: D2850006 0000A505
	v_readlane_b32 s82, v3, 3                                  // 000000006BAC: D2890052 00010703
	s_lshr_b32 s61, s82, 24                                    // 000000006BB4: 8F3D9852
	s_and_b32 s82, s82, 0xffffff                               // 000000006BB8: 8652FF52 00FFFFFF
	s_mul_i32 s82, s82, s71                                    // 000000006BC0: 92524752
	s_mul_i32 s61, s60, s61                                    // 000000006BC4: 923D3D3C
	s_add_u32 s82, s82, s61                                    // 000000006BC8: 80523D52
	v_mul_lo_u32 v7, v4, s82                                   // 000000006BCC: D2850007 0000A504
	v_add_u32_e32 v63, v6, v7                                  // 000000006BD4: 687E0F06
	v_readlane_b32 s82, v3, 4                                  // 000000006BD8: D2890052 00010903
	s_lshr_b32 s61, s82, 24                                    // 000000006BE0: 8F3D9852
	s_and_b32 s82, s82, 0xffffff                               // 000000006BE4: 8652FF52 00FFFFFF
	s_mul_i32 s82, s82, s71                                    // 000000006BEC: 92524752
	s_mul_i32 s61, s60, s61                                    // 000000006BF0: 923D3D3C
	s_add_u32 s82, s82, s61                                    // 000000006BF4: 80523D52
	v_mul_lo_u32 v6, v5, s82                                   // 000000006BF8: D2850006 0000A505
	v_readlane_b32 s82, v3, 5                                  // 000000006C00: D2890052 00010B03
	s_lshr_b32 s61, s82, 24                                    // 000000006C08: 8F3D9852
	s_and_b32 s82, s82, 0xffffff                               // 000000006C0C: 8652FF52 00FFFFFF
	s_mul_i32 s82, s82, s71                                    // 000000006C14: 92524752
	s_mul_i32 s61, s60, s61                                    // 000000006C18: 923D3D3C
	s_add_u32 s82, s82, s61                                    // 000000006C1C: 80523D52
	v_mul_lo_u32 v7, v4, s82                                   // 000000006C20: D2850007 0000A504
	v_add_u32_e32 v64, v6, v7                                  // 000000006C28: 68800F06
	v_readlane_b32 s82, v3, 6                                  // 000000006C2C: D2890052 00010D03
	s_lshr_b32 s61, s82, 24                                    // 000000006C34: 8F3D9852
	s_and_b32 s82, s82, 0xffffff                               // 000000006C38: 8652FF52 00FFFFFF
	s_mul_i32 s82, s82, s71                                    // 000000006C40: 92524752
	s_mul_i32 s61, s60, s61                                    // 000000006C44: 923D3D3C
	s_add_u32 s82, s82, s61                                    // 000000006C48: 80523D52
	v_mul_lo_u32 v6, v5, s82                                   // 000000006C4C: D2850006 0000A505
	v_readlane_b32 s82, v3, 7                                  // 000000006C54: D2890052 00010F03
	s_lshr_b32 s61, s82, 24                                    // 000000006C5C: 8F3D9852
	s_and_b32 s82, s82, 0xffffff                               // 000000006C60: 8652FF52 00FFFFFF
	s_mul_i32 s82, s82, s71                                    // 000000006C68: 92524752
	s_mul_i32 s61, s60, s61                                    // 000000006C6C: 923D3D3C
	s_add_u32 s82, s82, s61                                    // 000000006C70: 80523D52
	v_mul_lo_u32 v7, v4, s82                                   // 000000006C74: D2850007 0000A504
	v_add_u32_e32 v65, v6, v7                                  // 000000006C7C: 68820F06
	v_readlane_b32 s82, v3, 8                                  // 000000006C80: D2890052 00011103
	s_lshr_b32 s61, s82, 24                                    // 000000006C88: 8F3D9852
	s_and_b32 s82, s82, 0xffffff                               // 000000006C8C: 8652FF52 00FFFFFF
	s_mul_i32 s82, s82, s71                                    // 000000006C94: 92524752
	s_mul_i32 s61, s60, s61                                    // 000000006C98: 923D3D3C
	s_add_u32 s82, s82, s61                                    // 000000006C9C: 80523D52
	v_mul_lo_u32 v6, v5, s82                                   // 000000006CA0: D2850006 0000A505
	v_readlane_b32 s82, v3, 9                                  // 000000006CA8: D2890052 00011303
	s_lshr_b32 s61, s82, 24                                    // 000000006CB0: 8F3D9852
	s_and_b32 s82, s82, 0xffffff                               // 000000006CB4: 8652FF52 00FFFFFF
	s_mul_i32 s82, s82, s71                                    // 000000006CBC: 92524752
	s_mul_i32 s61, s60, s61                                    // 000000006CC0: 923D3D3C
	s_add_u32 s82, s82, s61                                    // 000000006CC4: 80523D52
	v_mul_lo_u32 v7, v4, s82                                   // 000000006CC8: D2850007 0000A504
	v_add_u32_e32 v66, v6, v7                                  // 000000006CD0: 68840F06
	v_readlane_b32 s82, v3, 10                                 // 000000006CD4: D2890052 00011503
	s_lshr_b32 s61, s82, 24                                    // 000000006CDC: 8F3D9852
	s_and_b32 s82, s82, 0xffffff                               // 000000006CE0: 8652FF52 00FFFFFF
	s_mul_i32 s82, s82, s71                                    // 000000006CE8: 92524752
	s_mul_i32 s61, s60, s61                                    // 000000006CEC: 923D3D3C
	s_add_u32 s82, s82, s61                                    // 000000006CF0: 80523D52
	v_mul_lo_u32 v6, v5, s82                                   // 000000006CF4: D2850006 0000A505
	v_readlane_b32 s82, v3, 11                                 // 000000006CFC: D2890052 00011703
	s_lshr_b32 s61, s82, 24                                    // 000000006D04: 8F3D9852
	s_and_b32 s82, s82, 0xffffff                               // 000000006D08: 8652FF52 00FFFFFF
	s_mul_i32 s82, s82, s71                                    // 000000006D10: 92524752
	s_mul_i32 s61, s60, s61                                    // 000000006D14: 923D3D3C
	s_add_u32 s82, s82, s61                                    // 000000006D18: 80523D52
	v_mul_lo_u32 v7, v4, s82                                   // 000000006D1C: D2850007 0000A504
	v_add_u32_e32 v67, v6, v7                                  // 000000006D24: 68860F06
	v_readlane_b32 s82, v3, 12                                 // 000000006D28: D2890052 00011903
	s_lshr_b32 s61, s82, 24                                    // 000000006D30: 8F3D9852
	s_and_b32 s82, s82, 0xffffff                               // 000000006D34: 8652FF52 00FFFFFF
	s_mul_i32 s82, s82, s71                                    // 000000006D3C: 92524752
	s_mul_i32 s61, s60, s61                                    // 000000006D40: 923D3D3C
	s_add_u32 s82, s82, s61                                    // 000000006D44: 80523D52
	v_mul_lo_u32 v6, v5, s82                                   // 000000006D48: D2850006 0000A505
	v_readlane_b32 s82, v3, 13                                 // 000000006D50: D2890052 00011B03
	s_lshr_b32 s61, s82, 24                                    // 000000006D58: 8F3D9852
	s_and_b32 s82, s82, 0xffffff                               // 000000006D5C: 8652FF52 00FFFFFF
	s_mul_i32 s82, s82, s71                                    // 000000006D64: 92524752
	s_mul_i32 s61, s60, s61                                    // 000000006D68: 923D3D3C
	s_add_u32 s82, s82, s61                                    // 000000006D6C: 80523D52
	v_mul_lo_u32 v7, v4, s82                                   // 000000006D70: D2850007 0000A504
	v_add_u32_e32 v68, v6, v7                                  // 000000006D78: 68880F06
	v_readlane_b32 s82, v3, 14                                 // 000000006D7C: D2890052 00011D03
	s_lshr_b32 s61, s82, 24                                    // 000000006D84: 8F3D9852
	s_and_b32 s82, s82, 0xffffff                               // 000000006D88: 8652FF52 00FFFFFF
	s_mul_i32 s82, s82, s71                                    // 000000006D90: 92524752
	s_mul_i32 s61, s60, s61                                    // 000000006D94: 923D3D3C
	s_add_u32 s82, s82, s61                                    // 000000006D98: 80523D52
	v_mul_lo_u32 v6, v5, s82                                   // 000000006D9C: D2850006 0000A505
	v_readlane_b32 s82, v3, 15                                 // 000000006DA4: D2890052 00011F03
	s_lshr_b32 s61, s82, 24                                    // 000000006DAC: 8F3D9852
	s_and_b32 s82, s82, 0xffffff                               // 000000006DB0: 8652FF52 00FFFFFF
	s_mul_i32 s82, s82, s71                                    // 000000006DB8: 92524752
	s_mul_i32 s61, s60, s61                                    // 000000006DBC: 923D3D3C
	s_add_u32 s82, s82, s61                                    // 000000006DC0: 80523D52
	v_mul_lo_u32 v7, v4, s82                                   // 000000006DC4: D2850007 0000A504
	v_add_u32_e32 v69, v6, v7                                  // 000000006DCC: 688A0F06
	v_readlane_b32 s82, v3, 16                                 // 000000006DD0: D2890052 00012103
	s_lshr_b32 s61, s82, 24                                    // 000000006DD8: 8F3D9852
	s_and_b32 s82, s82, 0xffffff                               // 000000006DDC: 8652FF52 00FFFFFF
	s_mul_i32 s82, s82, s71                                    // 000000006DE4: 92524752
	s_mul_i32 s61, s60, s61                                    // 000000006DE8: 923D3D3C
	s_add_u32 s82, s82, s61                                    // 000000006DEC: 80523D52
	v_mul_lo_u32 v6, v5, s82                                   // 000000006DF0: D2850006 0000A505
	v_readlane_b32 s82, v3, 17                                 // 000000006DF8: D2890052 00012303
	s_lshr_b32 s61, s82, 24                                    // 000000006E00: 8F3D9852
	s_and_b32 s82, s82, 0xffffff                               // 000000006E04: 8652FF52 00FFFFFF
	s_mul_i32 s82, s82, s71                                    // 000000006E0C: 92524752
	s_mul_i32 s61, s60, s61                                    // 000000006E10: 923D3D3C
	s_add_u32 s82, s82, s61                                    // 000000006E14: 80523D52
	v_mul_lo_u32 v7, v4, s82                                   // 000000006E18: D2850007 0000A504
	v_add_u32_e32 v70, v6, v7                                  // 000000006E20: 688C0F06
	v_readlane_b32 s82, v3, 18                                 // 000000006E24: D2890052 00012503
	s_lshr_b32 s61, s82, 24                                    // 000000006E2C: 8F3D9852
	s_and_b32 s82, s82, 0xffffff                               // 000000006E30: 8652FF52 00FFFFFF
	s_mul_i32 s82, s82, s71                                    // 000000006E38: 92524752
	s_mul_i32 s61, s60, s61                                    // 000000006E3C: 923D3D3C
	s_add_u32 s82, s82, s61                                    // 000000006E40: 80523D52
	v_mul_lo_u32 v6, v5, s82                                   // 000000006E44: D2850006 0000A505
	v_readlane_b32 s82, v3, 19                                 // 000000006E4C: D2890052 00012703
	s_lshr_b32 s61, s82, 24                                    // 000000006E54: 8F3D9852
	s_and_b32 s82, s82, 0xffffff                               // 000000006E58: 8652FF52 00FFFFFF
	s_mul_i32 s82, s82, s71                                    // 000000006E60: 92524752
	s_mul_i32 s61, s60, s61                                    // 000000006E64: 923D3D3C
	s_add_u32 s82, s82, s61                                    // 000000006E68: 80523D52
	v_mul_lo_u32 v7, v4, s82                                   // 000000006E6C: D2850007 0000A504
	v_add_u32_e32 v71, v6, v7                                  // 000000006E74: 688E0F06
	v_readlane_b32 s82, v3, 20                                 // 000000006E78: D2890052 00012903
	s_lshr_b32 s61, s82, 24                                    // 000000006E80: 8F3D9852
	s_and_b32 s82, s82, 0xffffff                               // 000000006E84: 8652FF52 00FFFFFF
	s_mul_i32 s82, s82, s71                                    // 000000006E8C: 92524752
	s_mul_i32 s61, s60, s61                                    // 000000006E90: 923D3D3C
	s_add_u32 s82, s82, s61                                    // 000000006E94: 80523D52
	v_mul_lo_u32 v6, v5, s82                                   // 000000006E98: D2850006 0000A505
	v_readlane_b32 s82, v3, 21                                 // 000000006EA0: D2890052 00012B03
	s_lshr_b32 s61, s82, 24                                    // 000000006EA8: 8F3D9852
	s_and_b32 s82, s82, 0xffffff                               // 000000006EAC: 8652FF52 00FFFFFF
	s_mul_i32 s82, s82, s71                                    // 000000006EB4: 92524752
	s_mul_i32 s61, s60, s61                                    // 000000006EB8: 923D3D3C
	s_add_u32 s82, s82, s61                                    // 000000006EBC: 80523D52
	v_mul_lo_u32 v7, v4, s82                                   // 000000006EC0: D2850007 0000A504
	v_add_u32_e32 v72, v6, v7                                  // 000000006EC8: 68900F06
	v_readlane_b32 s82, v3, 22                                 // 000000006ECC: D2890052 00012D03
	s_lshr_b32 s61, s82, 24                                    // 000000006ED4: 8F3D9852
	s_and_b32 s82, s82, 0xffffff                               // 000000006ED8: 8652FF52 00FFFFFF
	s_mul_i32 s82, s82, s71                                    // 000000006EE0: 92524752
	s_mul_i32 s61, s60, s61                                    // 000000006EE4: 923D3D3C
	s_add_u32 s82, s82, s61                                    // 000000006EE8: 80523D52
	v_mul_lo_u32 v6, v5, s82                                   // 000000006EEC: D2850006 0000A505
	v_readlane_b32 s82, v3, 23                                 // 000000006EF4: D2890052 00012F03
	s_lshr_b32 s61, s82, 24                                    // 000000006EFC: 8F3D9852
	s_and_b32 s82, s82, 0xffffff                               // 000000006F00: 8652FF52 00FFFFFF
	s_mul_i32 s82, s82, s71                                    // 000000006F08: 92524752
	s_mul_i32 s61, s60, s61                                    // 000000006F0C: 923D3D3C
	s_add_u32 s82, s82, s61                                    // 000000006F10: 80523D52
	v_mul_lo_u32 v7, v4, s82                                   // 000000006F14: D2850007 0000A504
	v_add_u32_e32 v73, v6, v7                                  // 000000006F1C: 68920F06
	v_readlane_b32 s82, v3, 24                                 // 000000006F20: D2890052 00013103
	s_lshr_b32 s61, s82, 24                                    // 000000006F28: 8F3D9852
	s_and_b32 s82, s82, 0xffffff                               // 000000006F2C: 8652FF52 00FFFFFF
	s_mul_i32 s82, s82, s71                                    // 000000006F34: 92524752
	s_mul_i32 s61, s60, s61                                    // 000000006F38: 923D3D3C
	s_add_u32 s82, s82, s61                                    // 000000006F3C: 80523D52
	v_mul_lo_u32 v6, v5, s82                                   // 000000006F40: D2850006 0000A505
	v_readlane_b32 s82, v3, 25                                 // 000000006F48: D2890052 00013303
	s_lshr_b32 s61, s82, 24                                    // 000000006F50: 8F3D9852
	s_and_b32 s82, s82, 0xffffff                               // 000000006F54: 8652FF52 00FFFFFF
	s_mul_i32 s82, s82, s71                                    // 000000006F5C: 92524752
	s_mul_i32 s61, s60, s61                                    // 000000006F60: 923D3D3C
	s_add_u32 s82, s82, s61                                    // 000000006F64: 80523D52
	v_mul_lo_u32 v7, v4, s82                                   // 000000006F68: D2850007 0000A504
	v_add_u32_e32 v74, v6, v7                                  // 000000006F70: 68940F06
	v_readlane_b32 s82, v3, 26                                 // 000000006F74: D2890052 00013503
	s_lshr_b32 s61, s82, 24                                    // 000000006F7C: 8F3D9852
	s_and_b32 s82, s82, 0xffffff                               // 000000006F80: 8652FF52 00FFFFFF
	s_mul_i32 s82, s82, s71                                    // 000000006F88: 92524752
	s_mul_i32 s61, s60, s61                                    // 000000006F8C: 923D3D3C
	s_add_u32 s82, s82, s61                                    // 000000006F90: 80523D52
	v_mul_lo_u32 v6, v5, s82                                   // 000000006F94: D2850006 0000A505
	v_readlane_b32 s82, v3, 27                                 // 000000006F9C: D2890052 00013703
	s_lshr_b32 s61, s82, 24                                    // 000000006FA4: 8F3D9852
	s_and_b32 s82, s82, 0xffffff                               // 000000006FA8: 8652FF52 00FFFFFF
	s_mul_i32 s82, s82, s71                                    // 000000006FB0: 92524752
	s_mul_i32 s61, s60, s61                                    // 000000006FB4: 923D3D3C
	s_add_u32 s82, s82, s61                                    // 000000006FB8: 80523D52
	v_mul_lo_u32 v7, v4, s82                                   // 000000006FBC: D2850007 0000A504
	v_add_u32_e32 v75, v6, v7                                  // 000000006FC4: 68960F06
	v_readlane_b32 s82, v3, 28                                 // 000000006FC8: D2890052 00013903
	s_lshr_b32 s61, s82, 24                                    // 000000006FD0: 8F3D9852
	s_and_b32 s82, s82, 0xffffff                               // 000000006FD4: 8652FF52 00FFFFFF
	s_mul_i32 s82, s82, s71                                    // 000000006FDC: 92524752
	s_mul_i32 s61, s60, s61                                    // 000000006FE0: 923D3D3C
	s_add_u32 s82, s82, s61                                    // 000000006FE4: 80523D52
	v_mul_lo_u32 v6, v5, s82                                   // 000000006FE8: D2850006 0000A505
	v_readlane_b32 s82, v3, 29                                 // 000000006FF0: D2890052 00013B03
	s_lshr_b32 s61, s82, 24                                    // 000000006FF8: 8F3D9852
	s_and_b32 s82, s82, 0xffffff                               // 000000006FFC: 8652FF52 00FFFFFF
	s_mul_i32 s82, s82, s71                                    // 000000007004: 92524752
	s_mul_i32 s61, s60, s61                                    // 000000007008: 923D3D3C
	s_add_u32 s82, s82, s61                                    // 00000000700C: 80523D52
	v_mul_lo_u32 v7, v4, s82                                   // 000000007010: D2850007 0000A504
	v_add_u32_e32 v76, v6, v7                                  // 000000007018: 68980F06
	v_readlane_b32 s82, v3, 30                                 // 00000000701C: D2890052 00013D03
	s_lshr_b32 s61, s82, 24                                    // 000000007024: 8F3D9852
	s_and_b32 s82, s82, 0xffffff                               // 000000007028: 8652FF52 00FFFFFF
	s_mul_i32 s82, s82, s71                                    // 000000007030: 92524752
	s_mul_i32 s61, s60, s61                                    // 000000007034: 923D3D3C
	s_add_u32 s82, s82, s61                                    // 000000007038: 80523D52
	v_mul_lo_u32 v6, v5, s82                                   // 00000000703C: D2850006 0000A505
	v_readlane_b32 s82, v3, 31                                 // 000000007044: D2890052 00013F03
	s_lshr_b32 s61, s82, 24                                    // 00000000704C: 8F3D9852
	s_and_b32 s82, s82, 0xffffff                               // 000000007050: 8652FF52 00FFFFFF
	s_mul_i32 s82, s82, s71                                    // 000000007058: 92524752
	s_mul_i32 s61, s60, s61                                    // 00000000705C: 923D3D3C
	s_add_u32 s82, s82, s61                                    // 000000007060: 80523D52
	v_mul_lo_u32 v7, v4, s82                                   // 000000007064: D2850007 0000A504
	v_add_u32_e32 v77, v6, v7                                  // 00000000706C: 689A0F06
	v_and_b32_e32 v4, 31, v0                                   // 000000007070: 2608009F
	v_lshrrev_b32_e32 v4, 1, v4                                // 000000007074: 20080881
	s_cmp_eq_u32 s88, 0                                        // 000000007078: BF068058
	s_cselect_b32 s61, 2, 4                                    // 00000000707C: 853D8482
	v_mul_lo_u32 v4, v4, s61                                   // 000000007080: D2850004 00007B04
	v_and_b32_e64 v5, v0, 1                                    // 000000007088: D1130005 00010300
	v_add_u32_e32 v4, v4, v5                                   // 000000007090: 68080B04
	v_lshlrev_b32_e32 v4, 2, v4                                // 000000007094: 24080882
	v_add_u32_e32 v62, v62, v4                                 // 000000007098: 687C093E
	v_add_u32_e32 v63, v63, v4                                 // 00000000709C: 687E093F
	v_add_u32_e32 v64, v64, v4                                 // 0000000070A0: 68800940
	v_add_u32_e32 v65, v65, v4                                 // 0000000070A4: 68820941
	v_add_u32_e32 v66, v66, v4                                 // 0000000070A8: 68840942
	v_add_u32_e32 v67, v67, v4                                 // 0000000070AC: 68860943
	v_add_u32_e32 v68, v68, v4                                 // 0000000070B0: 68880944
	v_add_u32_e32 v69, v69, v4                                 // 0000000070B4: 688A0945
	v_add_u32_e32 v70, v70, v4                                 // 0000000070B8: 688C0946
	v_add_u32_e32 v71, v71, v4                                 // 0000000070BC: 688E0947
	v_add_u32_e32 v72, v72, v4                                 // 0000000070C0: 68900948
	v_add_u32_e32 v73, v73, v4                                 // 0000000070C4: 68920949
	v_add_u32_e32 v74, v74, v4                                 // 0000000070C8: 6894094A
	v_add_u32_e32 v75, v75, v4                                 // 0000000070CC: 6896094B
	v_add_u32_e32 v76, v76, v4                                 // 0000000070D0: 6898094C
	v_add_u32_e32 v77, v77, v4                                 // 0000000070D4: 689A094D
	s_waitcnt lgkmcnt(0)                                       // 0000000070D8: BF8CC07F
	s_barrier                                                  // 0000000070DC: BF8A0000
	ds_read_b32 v80, v21                                       // 0000000070E0: D86C0000 50000015
	ds_read_b32 v81, v21 offset:64                             // 0000000070E8: D86C0040 51000015
	ds_read_b32 v84, v21 offset:2176                           // 0000000070F0: D86C0880 54000015
	ds_read_b32 v85, v21 offset:2240                           // 0000000070F8: D86C08C0 55000015
	ds_read_b32 v88, v21 offset:4352                           // 000000007100: D86C1100 58000015
	ds_read_b32 v89, v21 offset:4416                           // 000000007108: D86C1140 59000015
	ds_read_b32 v92, v21 offset:6528                           // 000000007110: D86C1980 5C000015
	ds_read_b32 v93, v21 offset:6592                           // 000000007118: D86C19C0 5D000015
	ds_read_b32 v96, v21 offset:8704                           // 000000007120: D86C2200 60000015
	ds_read_b32 v97, v21 offset:8768                           // 000000007128: D86C2240 61000015
	ds_read_b32 v100, v21 offset:10880                         // 000000007130: D86C2A80 64000015
	ds_read_b32 v101, v21 offset:10944                         // 000000007138: D86C2AC0 65000015
	ds_read_b32 v104, v21 offset:13056                         // 000000007140: D86C3300 68000015
	ds_read_b32 v105, v21 offset:13120                         // 000000007148: D86C3340 69000015
	ds_read_b32 v108, v21 offset:15232                         // 000000007150: D86C3B80 6C000015
	ds_read_b32 v109, v21 offset:15296                         // 000000007158: D86C3BC0 6D000015
	s_waitcnt lgkmcnt(0)                                       // 000000007160: BF8CC07F
	s_mov_b32 s36, -1                                          // 000000007164: BEA400C1
	s_mov_b32 s37, -1                                          // 000000007168: BEA500C1
	v_mov_b32_e32 v7, 0                                        // 00000000716C: 7E0E0280
	s_mov_b64 exec, s[36:37]                                   // 000000007170: BEFE0124
	v_mov_b32_e32 v6, v62                                      // 000000007174: 7E0C033E
	s_mov_b64 s[60:61], 0                                      // 000000007178: BEBC0180
	v_readlane_b32 s82, v3, 0                                  // 00000000717C: D2890052 00010103
	s_and_b32 s82, s82, 0xffffff                               // 000000007184: 8652FF52 00FFFFFF
	s_cmp_lt_u32 s82, s66                                      // 00000000718C: BF0A4252
	s_cselect_b32 s20, s36, s60                                // 000000007190: 85143C24
	v_readlane_b32 s82, v3, 1                                  // 000000007194: D2890052 00010303
	s_and_b32 s82, s82, 0xffffff                               // 00000000719C: 8652FF52 00FFFFFF
	s_cmp_lt_u32 s82, s66                                      // 0000000071A4: BF0A4252
	s_cselect_b32 s21, s36, s60                                // 0000000071A8: 85153C24
	s_mov_b64 exec, s[20:21]                                   // 0000000071AC: BEFE0114
	global_atomic_add_f32 v6, v80, s[8:9]                      // 0000000071B0: DD348000 00085006
	s_mov_b64 exec, s[36:37]                                   // 0000000071B8: BEFE0124
	v_mov_b32_e32 v6, v63                                      // 0000000071BC: 7E0C033F
	s_mov_b64 s[60:61], 0                                      // 0000000071C0: BEBC0180
	v_readlane_b32 s82, v3, 2                                  // 0000000071C4: D2890052 00010503
	s_and_b32 s82, s82, 0xffffff                               // 0000000071CC: 8652FF52 00FFFFFF
	s_cmp_lt_u32 s82, s66                                      // 0000000071D4: BF0A4252
	s_cselect_b32 s20, s36, s60                                // 0000000071D8: 85143C24
	v_readlane_b32 s82, v3, 3                                  // 0000000071DC: D2890052 00010703
	s_and_b32 s82, s82, 0xffffff                               // 0000000071E4: 8652FF52 00FFFFFF
	s_cmp_lt_u32 s82, s66                                      // 0000000071EC: BF0A4252
	s_cselect_b32 s21, s36, s60                                // 0000000071F0: 85153C24
	s_mov_b64 exec, s[20:21]                                   // 0000000071F4: BEFE0114
	global_atomic_add_f32 v6, v81, s[8:9]                      // 0000000071F8: DD348000 00085106
	s_mov_b64 exec, s[36:37]                                   // 000000007200: BEFE0124
	v_mov_b32_e32 v6, v64                                      // 000000007204: 7E0C0340
	s_mov_b64 s[60:61], 0                                      // 000000007208: BEBC0180
	v_readlane_b32 s82, v3, 4                                  // 00000000720C: D2890052 00010903
	s_and_b32 s82, s82, 0xffffff                               // 000000007214: 8652FF52 00FFFFFF
	s_cmp_lt_u32 s82, s66                                      // 00000000721C: BF0A4252
	s_cselect_b32 s20, s36, s60                                // 000000007220: 85143C24
	v_readlane_b32 s82, v3, 5                                  // 000000007224: D2890052 00010B03
	s_and_b32 s82, s82, 0xffffff                               // 00000000722C: 8652FF52 00FFFFFF
	s_cmp_lt_u32 s82, s66                                      // 000000007234: BF0A4252
	s_cselect_b32 s21, s36, s60                                // 000000007238: 85153C24
	s_mov_b64 exec, s[20:21]                                   // 00000000723C: BEFE0114
	global_atomic_add_f32 v6, v84, s[8:9]                      // 000000007240: DD348000 00085406
	s_mov_b64 exec, s[36:37]                                   // 000000007248: BEFE0124
	v_mov_b32_e32 v6, v65                                      // 00000000724C: 7E0C0341
	s_mov_b64 s[60:61], 0                                      // 000000007250: BEBC0180
	v_readlane_b32 s82, v3, 6                                  // 000000007254: D2890052 00010D03
	s_and_b32 s82, s82, 0xffffff                               // 00000000725C: 8652FF52 00FFFFFF
	s_cmp_lt_u32 s82, s66                                      // 000000007264: BF0A4252
	s_cselect_b32 s20, s36, s60                                // 000000007268: 85143C24
	v_readlane_b32 s82, v3, 7                                  // 00000000726C: D2890052 00010F03
	s_and_b32 s82, s82, 0xffffff                               // 000000007274: 8652FF52 00FFFFFF
	s_cmp_lt_u32 s82, s66                                      // 00000000727C: BF0A4252
	s_cselect_b32 s21, s36, s60                                // 000000007280: 85153C24
	s_mov_b64 exec, s[20:21]                                   // 000000007284: BEFE0114
	global_atomic_add_f32 v6, v85, s[8:9]                      // 000000007288: DD348000 00085506
	s_mov_b64 exec, s[36:37]                                   // 000000007290: BEFE0124
	v_mov_b32_e32 v6, v66                                      // 000000007294: 7E0C0342
	s_mov_b64 s[60:61], 0                                      // 000000007298: BEBC0180
	v_readlane_b32 s82, v3, 8                                  // 00000000729C: D2890052 00011103
	s_and_b32 s82, s82, 0xffffff                               // 0000000072A4: 8652FF52 00FFFFFF
	s_cmp_lt_u32 s82, s66                                      // 0000000072AC: BF0A4252
	s_cselect_b32 s20, s36, s60                                // 0000000072B0: 85143C24
	v_readlane_b32 s82, v3, 9                                  // 0000000072B4: D2890052 00011303
	s_and_b32 s82, s82, 0xffffff                               // 0000000072BC: 8652FF52 00FFFFFF
	s_cmp_lt_u32 s82, s66                                      // 0000000072C4: BF0A4252
	s_cselect_b32 s21, s36, s60                                // 0000000072C8: 85153C24
	s_mov_b64 exec, s[20:21]                                   // 0000000072CC: BEFE0114
	global_atomic_add_f32 v6, v88, s[8:9]                      // 0000000072D0: DD348000 00085806
	s_mov_b64 exec, s[36:37]                                   // 0000000072D8: BEFE0124
	v_mov_b32_e32 v6, v67                                      // 0000000072DC: 7E0C0343
	s_mov_b64 s[60:61], 0                                      // 0000000072E0: BEBC0180
	v_readlane_b32 s82, v3, 10                                 // 0000000072E4: D2890052 00011503
	s_and_b32 s82, s82, 0xffffff                               // 0000000072EC: 8652FF52 00FFFFFF
	s_cmp_lt_u32 s82, s66                                      // 0000000072F4: BF0A4252
	s_cselect_b32 s20, s36, s60                                // 0000000072F8: 85143C24
	v_readlane_b32 s82, v3, 11                                 // 0000000072FC: D2890052 00011703
	s_and_b32 s82, s82, 0xffffff                               // 000000007304: 8652FF52 00FFFFFF
	s_cmp_lt_u32 s82, s66                                      // 00000000730C: BF0A4252
	s_cselect_b32 s21, s36, s60                                // 000000007310: 85153C24
	s_mov_b64 exec, s[20:21]                                   // 000000007314: BEFE0114
	global_atomic_add_f32 v6, v89, s[8:9]                      // 000000007318: DD348000 00085906
	s_mov_b64 exec, s[36:37]                                   // 000000007320: BEFE0124
	v_mov_b32_e32 v6, v68                                      // 000000007324: 7E0C0344
	s_mov_b64 s[60:61], 0                                      // 000000007328: BEBC0180
	v_readlane_b32 s82, v3, 12                                 // 00000000732C: D2890052 00011903
	s_and_b32 s82, s82, 0xffffff                               // 000000007334: 8652FF52 00FFFFFF
	s_cmp_lt_u32 s82, s66                                      // 00000000733C: BF0A4252
	s_cselect_b32 s20, s36, s60                                // 000000007340: 85143C24
	v_readlane_b32 s82, v3, 13                                 // 000000007344: D2890052 00011B03
	s_and_b32 s82, s82, 0xffffff                               // 00000000734C: 8652FF52 00FFFFFF
	s_cmp_lt_u32 s82, s66                                      // 000000007354: BF0A4252
	s_cselect_b32 s21, s36, s60                                // 000000007358: 85153C24
	s_mov_b64 exec, s[20:21]                                   // 00000000735C: BEFE0114
	global_atomic_add_f32 v6, v92, s[8:9]                      // 000000007360: DD348000 00085C06
	s_mov_b64 exec, s[36:37]                                   // 000000007368: BEFE0124
	v_mov_b32_e32 v6, v69                                      // 00000000736C: 7E0C0345
	s_mov_b64 s[60:61], 0                                      // 000000007370: BEBC0180
	v_readlane_b32 s82, v3, 14                                 // 000000007374: D2890052 00011D03
	s_and_b32 s82, s82, 0xffffff                               // 00000000737C: 8652FF52 00FFFFFF
	s_cmp_lt_u32 s82, s66                                      // 000000007384: BF0A4252
	s_cselect_b32 s20, s36, s60                                // 000000007388: 85143C24
	v_readlane_b32 s82, v3, 15                                 // 00000000738C: D2890052 00011F03
	s_and_b32 s82, s82, 0xffffff                               // 000000007394: 8652FF52 00FFFFFF
	s_cmp_lt_u32 s82, s66                                      // 00000000739C: BF0A4252
	s_cselect_b32 s21, s36, s60                                // 0000000073A0: 85153C24
	s_mov_b64 exec, s[20:21]                                   // 0000000073A4: BEFE0114
	global_atomic_add_f32 v6, v93, s[8:9]                      // 0000000073A8: DD348000 00085D06
	s_mov_b64 exec, s[36:37]                                   // 0000000073B0: BEFE0124
	v_mov_b32_e32 v6, v70                                      // 0000000073B4: 7E0C0346
	s_mov_b64 s[60:61], 0                                      // 0000000073B8: BEBC0180
	v_readlane_b32 s82, v3, 16                                 // 0000000073BC: D2890052 00012103
	s_and_b32 s82, s82, 0xffffff                               // 0000000073C4: 8652FF52 00FFFFFF
	s_cmp_lt_u32 s82, s66                                      // 0000000073CC: BF0A4252
	s_cselect_b32 s20, s36, s60                                // 0000000073D0: 85143C24
	v_readlane_b32 s82, v3, 17                                 // 0000000073D4: D2890052 00012303
	s_and_b32 s82, s82, 0xffffff                               // 0000000073DC: 8652FF52 00FFFFFF
	s_cmp_lt_u32 s82, s66                                      // 0000000073E4: BF0A4252
	s_cselect_b32 s21, s36, s60                                // 0000000073E8: 85153C24
	s_mov_b64 exec, s[20:21]                                   // 0000000073EC: BEFE0114
	global_atomic_add_f32 v6, v96, s[8:9]                      // 0000000073F0: DD348000 00086006
	s_mov_b64 exec, s[36:37]                                   // 0000000073F8: BEFE0124
	v_mov_b32_e32 v6, v71                                      // 0000000073FC: 7E0C0347
	s_mov_b64 s[60:61], 0                                      // 000000007400: BEBC0180
	v_readlane_b32 s82, v3, 18                                 // 000000007404: D2890052 00012503
	s_and_b32 s82, s82, 0xffffff                               // 00000000740C: 8652FF52 00FFFFFF
	s_cmp_lt_u32 s82, s66                                      // 000000007414: BF0A4252
	s_cselect_b32 s20, s36, s60                                // 000000007418: 85143C24
	v_readlane_b32 s82, v3, 19                                 // 00000000741C: D2890052 00012703
	s_and_b32 s82, s82, 0xffffff                               // 000000007424: 8652FF52 00FFFFFF
	s_cmp_lt_u32 s82, s66                                      // 00000000742C: BF0A4252
	s_cselect_b32 s21, s36, s60                                // 000000007430: 85153C24
	s_mov_b64 exec, s[20:21]                                   // 000000007434: BEFE0114
	global_atomic_add_f32 v6, v97, s[8:9]                      // 000000007438: DD348000 00086106
	s_mov_b64 exec, s[36:37]                                   // 000000007440: BEFE0124
	v_mov_b32_e32 v6, v72                                      // 000000007444: 7E0C0348
	s_mov_b64 s[60:61], 0                                      // 000000007448: BEBC0180
	v_readlane_b32 s82, v3, 20                                 // 00000000744C: D2890052 00012903
	s_and_b32 s82, s82, 0xffffff                               // 000000007454: 8652FF52 00FFFFFF
	s_cmp_lt_u32 s82, s66                                      // 00000000745C: BF0A4252
	s_cselect_b32 s20, s36, s60                                // 000000007460: 85143C24
	v_readlane_b32 s82, v3, 21                                 // 000000007464: D2890052 00012B03
	s_and_b32 s82, s82, 0xffffff                               // 00000000746C: 8652FF52 00FFFFFF
	s_cmp_lt_u32 s82, s66                                      // 000000007474: BF0A4252
	s_cselect_b32 s21, s36, s60                                // 000000007478: 85153C24
	s_mov_b64 exec, s[20:21]                                   // 00000000747C: BEFE0114
	global_atomic_add_f32 v6, v100, s[8:9]                     // 000000007480: DD348000 00086406
	s_mov_b64 exec, s[36:37]                                   // 000000007488: BEFE0124
	v_mov_b32_e32 v6, v73                                      // 00000000748C: 7E0C0349
	s_mov_b64 s[60:61], 0                                      // 000000007490: BEBC0180
	v_readlane_b32 s82, v3, 22                                 // 000000007494: D2890052 00012D03
	s_and_b32 s82, s82, 0xffffff                               // 00000000749C: 8652FF52 00FFFFFF
	s_cmp_lt_u32 s82, s66                                      // 0000000074A4: BF0A4252
	s_cselect_b32 s20, s36, s60                                // 0000000074A8: 85143C24
	v_readlane_b32 s82, v3, 23                                 // 0000000074AC: D2890052 00012F03
	s_and_b32 s82, s82, 0xffffff                               // 0000000074B4: 8652FF52 00FFFFFF
	s_cmp_lt_u32 s82, s66                                      // 0000000074BC: BF0A4252
	s_cselect_b32 s21, s36, s60                                // 0000000074C0: 85153C24
	s_mov_b64 exec, s[20:21]                                   // 0000000074C4: BEFE0114
	global_atomic_add_f32 v6, v101, s[8:9]                     // 0000000074C8: DD348000 00086506
	s_mov_b64 exec, s[36:37]                                   // 0000000074D0: BEFE0124
	v_mov_b32_e32 v6, v74                                      // 0000000074D4: 7E0C034A
	s_mov_b64 s[60:61], 0                                      // 0000000074D8: BEBC0180
	v_readlane_b32 s82, v3, 24                                 // 0000000074DC: D2890052 00013103
	s_and_b32 s82, s82, 0xffffff                               // 0000000074E4: 8652FF52 00FFFFFF
	s_cmp_lt_u32 s82, s66                                      // 0000000074EC: BF0A4252
	s_cselect_b32 s20, s36, s60                                // 0000000074F0: 85143C24
	v_readlane_b32 s82, v3, 25                                 // 0000000074F4: D2890052 00013303
	s_and_b32 s82, s82, 0xffffff                               // 0000000074FC: 8652FF52 00FFFFFF
	s_cmp_lt_u32 s82, s66                                      // 000000007504: BF0A4252
	s_cselect_b32 s21, s36, s60                                // 000000007508: 85153C24
	s_mov_b64 exec, s[20:21]                                   // 00000000750C: BEFE0114
	global_atomic_add_f32 v6, v104, s[8:9]                     // 000000007510: DD348000 00086806
	s_mov_b64 exec, s[36:37]                                   // 000000007518: BEFE0124
	v_mov_b32_e32 v6, v75                                      // 00000000751C: 7E0C034B
	s_mov_b64 s[60:61], 0                                      // 000000007520: BEBC0180
	v_readlane_b32 s82, v3, 26                                 // 000000007524: D2890052 00013503
	s_and_b32 s82, s82, 0xffffff                               // 00000000752C: 8652FF52 00FFFFFF
	s_cmp_lt_u32 s82, s66                                      // 000000007534: BF0A4252
	s_cselect_b32 s20, s36, s60                                // 000000007538: 85143C24
	v_readlane_b32 s82, v3, 27                                 // 00000000753C: D2890052 00013703
	s_and_b32 s82, s82, 0xffffff                               // 000000007544: 8652FF52 00FFFFFF
	s_cmp_lt_u32 s82, s66                                      // 00000000754C: BF0A4252
	s_cselect_b32 s21, s36, s60                                // 000000007550: 85153C24
	s_mov_b64 exec, s[20:21]                                   // 000000007554: BEFE0114
	global_atomic_add_f32 v6, v105, s[8:9]                     // 000000007558: DD348000 00086906
	s_mov_b64 exec, s[36:37]                                   // 000000007560: BEFE0124
	v_mov_b32_e32 v6, v76                                      // 000000007564: 7E0C034C
	s_mov_b64 s[60:61], 0                                      // 000000007568: BEBC0180
	v_readlane_b32 s82, v3, 28                                 // 00000000756C: D2890052 00013903
	s_and_b32 s82, s82, 0xffffff                               // 000000007574: 8652FF52 00FFFFFF
	s_cmp_lt_u32 s82, s66                                      // 00000000757C: BF0A4252
	s_cselect_b32 s20, s36, s60                                // 000000007580: 85143C24
	v_readlane_b32 s82, v3, 29                                 // 000000007584: D2890052 00013B03
	s_and_b32 s82, s82, 0xffffff                               // 00000000758C: 8652FF52 00FFFFFF
	s_cmp_lt_u32 s82, s66                                      // 000000007594: BF0A4252
	s_cselect_b32 s21, s36, s60                                // 000000007598: 85153C24
	s_mov_b64 exec, s[20:21]                                   // 00000000759C: BEFE0114
	global_atomic_add_f32 v6, v108, s[8:9]                     // 0000000075A0: DD348000 00086C06
	s_mov_b64 exec, s[36:37]                                   // 0000000075A8: BEFE0124
	v_mov_b32_e32 v6, v77                                      // 0000000075AC: 7E0C034D
	s_mov_b64 s[60:61], 0                                      // 0000000075B0: BEBC0180
	v_readlane_b32 s82, v3, 30                                 // 0000000075B4: D2890052 00013D03
	s_and_b32 s82, s82, 0xffffff                               // 0000000075BC: 8652FF52 00FFFFFF
	s_cmp_lt_u32 s82, s66                                      // 0000000075C4: BF0A4252
	s_cselect_b32 s20, s36, s60                                // 0000000075C8: 85143C24
	v_readlane_b32 s82, v3, 31                                 // 0000000075CC: D2890052 00013F03
	s_and_b32 s82, s82, 0xffffff                               // 0000000075D4: 8652FF52 00FFFFFF
	s_cmp_lt_u32 s82, s66                                      // 0000000075DC: BF0A4252
	s_cselect_b32 s21, s36, s60                                // 0000000075E0: 85153C24
	s_mov_b64 exec, s[20:21]                                   // 0000000075E4: BEFE0114
	global_atomic_add_f32 v6, v109, s[8:9]                     // 0000000075E8: DD348000 00086D06
	s_mov_b64 exec, s[36:37]                                   // 0000000075F0: BEFE0124
	ds_write_b64 v20, v[82:83]                                 // 0000000075F4: D89A0000 00005214
	ds_write_b64 v20, v[86:87] offset:2176                     // 0000000075FC: D89A0880 00005614
	ds_write_b64 v20, v[90:91] offset:4352                     // 000000007604: D89A1100 00005A14
	ds_write_b64 v20, v[94:95] offset:6528                     // 00000000760C: D89A1980 00005E14
	ds_write_b64 v20, v[98:99] offset:8704                     // 000000007614: D89A2200 00006214
	ds_write_b64 v20, v[102:103] offset:10880                  // 00000000761C: D89A2A80 00006614
	ds_write_b64 v20, v[106:107] offset:13056                  // 000000007624: D89A3300 00006A14
	ds_write_b64 v20, v[110:111] offset:15232                  // 00000000762C: D89A3B80 00006E14
	s_waitcnt lgkmcnt(0)                                       // 000000007634: BF8CC07F
	s_barrier                                                  // 000000007638: BF8A0000
	ds_read_b32 v82, v21                                       // 00000000763C: D86C0000 52000015
	ds_read_b32 v83, v21 offset:64                             // 000000007644: D86C0040 53000015
	ds_read_b32 v86, v21 offset:2176                           // 00000000764C: D86C0880 56000015
	ds_read_b32 v87, v21 offset:2240                           // 000000007654: D86C08C0 57000015
	ds_read_b32 v90, v21 offset:4352                           // 00000000765C: D86C1100 5A000015
	ds_read_b32 v91, v21 offset:4416                           // 000000007664: D86C1140 5B000015
	ds_read_b32 v94, v21 offset:6528                           // 00000000766C: D86C1980 5E000015
	ds_read_b32 v95, v21 offset:6592                           // 000000007674: D86C19C0 5F000015
	ds_read_b32 v98, v21 offset:8704                           // 00000000767C: D86C2200 62000015
	ds_read_b32 v99, v21 offset:8768                           // 000000007684: D86C2240 63000015
	ds_read_b32 v102, v21 offset:10880                         // 00000000768C: D86C2A80 66000015
	ds_read_b32 v103, v21 offset:10944                         // 000000007694: D86C2AC0 67000015
	ds_read_b32 v106, v21 offset:13056                         // 00000000769C: D86C3300 6A000015
	ds_read_b32 v107, v21 offset:13120                         // 0000000076A4: D86C3340 6B000015
	ds_read_b32 v110, v21 offset:15232                         // 0000000076AC: D86C3B80 6E000015
	ds_read_b32 v111, v21 offset:15296                         // 0000000076B4: D86C3BC0 6F000015
	s_waitcnt lgkmcnt(0)                                       // 0000000076BC: BF8CC07F
	v_mov_b32_e32 v7, 0                                        // 0000000076C0: 7E0E0280
	s_mov_b64 exec, s[36:37]                                   // 0000000076C4: BEFE0124
	v_mov_b32_e32 v6, v62                                      // 0000000076C8: 7E0C033E
	s_mov_b64 s[60:61], 0                                      // 0000000076CC: BEBC0180
	v_readlane_b32 s82, v3, 0                                  // 0000000076D0: D2890052 00010103
	s_and_b32 s82, s82, 0xffffff                               // 0000000076D8: 8652FF52 00FFFFFF
	s_cmp_lt_u32 s82, s66                                      // 0000000076E0: BF0A4252
	s_cselect_b32 s20, s36, s60                                // 0000000076E4: 85143C24
	v_readlane_b32 s82, v3, 1                                  // 0000000076E8: D2890052 00010303
	s_and_b32 s82, s82, 0xffffff                               // 0000000076F0: 8652FF52 00FFFFFF
	s_cmp_lt_u32 s82, s66                                      // 0000000076F8: BF0A4252
	s_cselect_b32 s21, s36, s60                                // 0000000076FC: 85153C24
	s_mov_b64 exec, s[20:21]                                   // 000000007700: BEFE0114
	global_atomic_add_f32 v6, v82, s[8:9] offset:8             // 000000007704: DD348008 00085206
	s_mov_b64 exec, s[36:37]                                   // 00000000770C: BEFE0124
	v_mov_b32_e32 v6, v63                                      // 000000007710: 7E0C033F
	s_mov_b64 s[60:61], 0                                      // 000000007714: BEBC0180
	v_readlane_b32 s82, v3, 2                                  // 000000007718: D2890052 00010503
	s_and_b32 s82, s82, 0xffffff                               // 000000007720: 8652FF52 00FFFFFF
	s_cmp_lt_u32 s82, s66                                      // 000000007728: BF0A4252
	s_cselect_b32 s20, s36, s60                                // 00000000772C: 85143C24
	v_readlane_b32 s82, v3, 3                                  // 000000007730: D2890052 00010703
	s_and_b32 s82, s82, 0xffffff                               // 000000007738: 8652FF52 00FFFFFF
	s_cmp_lt_u32 s82, s66                                      // 000000007740: BF0A4252
	s_cselect_b32 s21, s36, s60                                // 000000007744: 85153C24
	s_mov_b64 exec, s[20:21]                                   // 000000007748: BEFE0114
	global_atomic_add_f32 v6, v83, s[8:9] offset:8             // 00000000774C: DD348008 00085306
	s_mov_b64 exec, s[36:37]                                   // 000000007754: BEFE0124
	v_mov_b32_e32 v6, v64                                      // 000000007758: 7E0C0340
	s_mov_b64 s[60:61], 0                                      // 00000000775C: BEBC0180
	v_readlane_b32 s82, v3, 4                                  // 000000007760: D2890052 00010903
	s_and_b32 s82, s82, 0xffffff                               // 000000007768: 8652FF52 00FFFFFF
	s_cmp_lt_u32 s82, s66                                      // 000000007770: BF0A4252
	s_cselect_b32 s20, s36, s60                                // 000000007774: 85143C24
	v_readlane_b32 s82, v3, 5                                  // 000000007778: D2890052 00010B03
	s_and_b32 s82, s82, 0xffffff                               // 000000007780: 8652FF52 00FFFFFF
	s_cmp_lt_u32 s82, s66                                      // 000000007788: BF0A4252
	s_cselect_b32 s21, s36, s60                                // 00000000778C: 85153C24
	s_mov_b64 exec, s[20:21]                                   // 000000007790: BEFE0114
	global_atomic_add_f32 v6, v86, s[8:9] offset:8             // 000000007794: DD348008 00085606
	s_mov_b64 exec, s[36:37]                                   // 00000000779C: BEFE0124
	v_mov_b32_e32 v6, v65                                      // 0000000077A0: 7E0C0341
	s_mov_b64 s[60:61], 0                                      // 0000000077A4: BEBC0180
	v_readlane_b32 s82, v3, 6                                  // 0000000077A8: D2890052 00010D03
	s_and_b32 s82, s82, 0xffffff                               // 0000000077B0: 8652FF52 00FFFFFF
	s_cmp_lt_u32 s82, s66                                      // 0000000077B8: BF0A4252
	s_cselect_b32 s20, s36, s60                                // 0000000077BC: 85143C24
	v_readlane_b32 s82, v3, 7                                  // 0000000077C0: D2890052 00010F03
	s_and_b32 s82, s82, 0xffffff                               // 0000000077C8: 8652FF52 00FFFFFF
	s_cmp_lt_u32 s82, s66                                      // 0000000077D0: BF0A4252
	s_cselect_b32 s21, s36, s60                                // 0000000077D4: 85153C24
	s_mov_b64 exec, s[20:21]                                   // 0000000077D8: BEFE0114
	global_atomic_add_f32 v6, v87, s[8:9] offset:8             // 0000000077DC: DD348008 00085706
	s_mov_b64 exec, s[36:37]                                   // 0000000077E4: BEFE0124
	v_mov_b32_e32 v6, v66                                      // 0000000077E8: 7E0C0342
	s_mov_b64 s[60:61], 0                                      // 0000000077EC: BEBC0180
	v_readlane_b32 s82, v3, 8                                  // 0000000077F0: D2890052 00011103
	s_and_b32 s82, s82, 0xffffff                               // 0000000077F8: 8652FF52 00FFFFFF
	s_cmp_lt_u32 s82, s66                                      // 000000007800: BF0A4252
	s_cselect_b32 s20, s36, s60                                // 000000007804: 85143C24
	v_readlane_b32 s82, v3, 9                                  // 000000007808: D2890052 00011303
	s_and_b32 s82, s82, 0xffffff                               // 000000007810: 8652FF52 00FFFFFF
	s_cmp_lt_u32 s82, s66                                      // 000000007818: BF0A4252
	s_cselect_b32 s21, s36, s60                                // 00000000781C: 85153C24
	s_mov_b64 exec, s[20:21]                                   // 000000007820: BEFE0114
	global_atomic_add_f32 v6, v90, s[8:9] offset:8             // 000000007824: DD348008 00085A06
	s_mov_b64 exec, s[36:37]                                   // 00000000782C: BEFE0124
	v_mov_b32_e32 v6, v67                                      // 000000007830: 7E0C0343
	s_mov_b64 s[60:61], 0                                      // 000000007834: BEBC0180
	v_readlane_b32 s82, v3, 10                                 // 000000007838: D2890052 00011503
	s_and_b32 s82, s82, 0xffffff                               // 000000007840: 8652FF52 00FFFFFF
	s_cmp_lt_u32 s82, s66                                      // 000000007848: BF0A4252
	s_cselect_b32 s20, s36, s60                                // 00000000784C: 85143C24
	v_readlane_b32 s82, v3, 11                                 // 000000007850: D2890052 00011703
	s_and_b32 s82, s82, 0xffffff                               // 000000007858: 8652FF52 00FFFFFF
	s_cmp_lt_u32 s82, s66                                      // 000000007860: BF0A4252
	s_cselect_b32 s21, s36, s60                                // 000000007864: 85153C24
	s_mov_b64 exec, s[20:21]                                   // 000000007868: BEFE0114
	global_atomic_add_f32 v6, v91, s[8:9] offset:8             // 00000000786C: DD348008 00085B06
	s_mov_b64 exec, s[36:37]                                   // 000000007874: BEFE0124
	v_mov_b32_e32 v6, v68                                      // 000000007878: 7E0C0344
	s_mov_b64 s[60:61], 0                                      // 00000000787C: BEBC0180
	v_readlane_b32 s82, v3, 12                                 // 000000007880: D2890052 00011903
	s_and_b32 s82, s82, 0xffffff                               // 000000007888: 8652FF52 00FFFFFF
	s_cmp_lt_u32 s82, s66                                      // 000000007890: BF0A4252
	s_cselect_b32 s20, s36, s60                                // 000000007894: 85143C24
	v_readlane_b32 s82, v3, 13                                 // 000000007898: D2890052 00011B03
	s_and_b32 s82, s82, 0xffffff                               // 0000000078A0: 8652FF52 00FFFFFF
	s_cmp_lt_u32 s82, s66                                      // 0000000078A8: BF0A4252
	s_cselect_b32 s21, s36, s60                                // 0000000078AC: 85153C24
	s_mov_b64 exec, s[20:21]                                   // 0000000078B0: BEFE0114
	global_atomic_add_f32 v6, v94, s[8:9] offset:8             // 0000000078B4: DD348008 00085E06
	s_mov_b64 exec, s[36:37]                                   // 0000000078BC: BEFE0124
	v_mov_b32_e32 v6, v69                                      // 0000000078C0: 7E0C0345
	s_mov_b64 s[60:61], 0                                      // 0000000078C4: BEBC0180
	v_readlane_b32 s82, v3, 14                                 // 0000000078C8: D2890052 00011D03
	s_and_b32 s82, s82, 0xffffff                               // 0000000078D0: 8652FF52 00FFFFFF
	s_cmp_lt_u32 s82, s66                                      // 0000000078D8: BF0A4252
	s_cselect_b32 s20, s36, s60                                // 0000000078DC: 85143C24
	v_readlane_b32 s82, v3, 15                                 // 0000000078E0: D2890052 00011F03
	s_and_b32 s82, s82, 0xffffff                               // 0000000078E8: 8652FF52 00FFFFFF
	s_cmp_lt_u32 s82, s66                                      // 0000000078F0: BF0A4252
	s_cselect_b32 s21, s36, s60                                // 0000000078F4: 85153C24
	s_mov_b64 exec, s[20:21]                                   // 0000000078F8: BEFE0114
	global_atomic_add_f32 v6, v95, s[8:9] offset:8             // 0000000078FC: DD348008 00085F06
	s_mov_b64 exec, s[36:37]                                   // 000000007904: BEFE0124
	v_mov_b32_e32 v6, v70                                      // 000000007908: 7E0C0346
	s_mov_b64 s[60:61], 0                                      // 00000000790C: BEBC0180
	v_readlane_b32 s82, v3, 16                                 // 000000007910: D2890052 00012103
	s_and_b32 s82, s82, 0xffffff                               // 000000007918: 8652FF52 00FFFFFF
	s_cmp_lt_u32 s82, s66                                      // 000000007920: BF0A4252
	s_cselect_b32 s20, s36, s60                                // 000000007924: 85143C24
	v_readlane_b32 s82, v3, 17                                 // 000000007928: D2890052 00012303
	s_and_b32 s82, s82, 0xffffff                               // 000000007930: 8652FF52 00FFFFFF
	s_cmp_lt_u32 s82, s66                                      // 000000007938: BF0A4252
	s_cselect_b32 s21, s36, s60                                // 00000000793C: 85153C24
	s_mov_b64 exec, s[20:21]                                   // 000000007940: BEFE0114
	global_atomic_add_f32 v6, v98, s[8:9] offset:8             // 000000007944: DD348008 00086206
	s_mov_b64 exec, s[36:37]                                   // 00000000794C: BEFE0124
	v_mov_b32_e32 v6, v71                                      // 000000007950: 7E0C0347
	s_mov_b64 s[60:61], 0                                      // 000000007954: BEBC0180
	v_readlane_b32 s82, v3, 18                                 // 000000007958: D2890052 00012503
	s_and_b32 s82, s82, 0xffffff                               // 000000007960: 8652FF52 00FFFFFF
	s_cmp_lt_u32 s82, s66                                      // 000000007968: BF0A4252
	s_cselect_b32 s20, s36, s60                                // 00000000796C: 85143C24
	v_readlane_b32 s82, v3, 19                                 // 000000007970: D2890052 00012703
	s_and_b32 s82, s82, 0xffffff                               // 000000007978: 8652FF52 00FFFFFF
	s_cmp_lt_u32 s82, s66                                      // 000000007980: BF0A4252
	s_cselect_b32 s21, s36, s60                                // 000000007984: 85153C24
	s_mov_b64 exec, s[20:21]                                   // 000000007988: BEFE0114
	global_atomic_add_f32 v6, v99, s[8:9] offset:8             // 00000000798C: DD348008 00086306
	s_mov_b64 exec, s[36:37]                                   // 000000007994: BEFE0124
	v_mov_b32_e32 v6, v72                                      // 000000007998: 7E0C0348
	s_mov_b64 s[60:61], 0                                      // 00000000799C: BEBC0180
	v_readlane_b32 s82, v3, 20                                 // 0000000079A0: D2890052 00012903
	s_and_b32 s82, s82, 0xffffff                               // 0000000079A8: 8652FF52 00FFFFFF
	s_cmp_lt_u32 s82, s66                                      // 0000000079B0: BF0A4252
	s_cselect_b32 s20, s36, s60                                // 0000000079B4: 85143C24
	v_readlane_b32 s82, v3, 21                                 // 0000000079B8: D2890052 00012B03
	s_and_b32 s82, s82, 0xffffff                               // 0000000079C0: 8652FF52 00FFFFFF
	s_cmp_lt_u32 s82, s66                                      // 0000000079C8: BF0A4252
	s_cselect_b32 s21, s36, s60                                // 0000000079CC: 85153C24
	s_mov_b64 exec, s[20:21]                                   // 0000000079D0: BEFE0114
	global_atomic_add_f32 v6, v102, s[8:9] offset:8            // 0000000079D4: DD348008 00086606
	s_mov_b64 exec, s[36:37]                                   // 0000000079DC: BEFE0124
	v_mov_b32_e32 v6, v73                                      // 0000000079E0: 7E0C0349
	s_mov_b64 s[60:61], 0                                      // 0000000079E4: BEBC0180
	v_readlane_b32 s82, v3, 22                                 // 0000000079E8: D2890052 00012D03
	s_and_b32 s82, s82, 0xffffff                               // 0000000079F0: 8652FF52 00FFFFFF
	s_cmp_lt_u32 s82, s66                                      // 0000000079F8: BF0A4252
	s_cselect_b32 s20, s36, s60                                // 0000000079FC: 85143C24
	v_readlane_b32 s82, v3, 23                                 // 000000007A00: D2890052 00012F03
	s_and_b32 s82, s82, 0xffffff                               // 000000007A08: 8652FF52 00FFFFFF
	s_cmp_lt_u32 s82, s66                                      // 000000007A10: BF0A4252
	s_cselect_b32 s21, s36, s60                                // 000000007A14: 85153C24
	s_mov_b64 exec, s[20:21]                                   // 000000007A18: BEFE0114
	global_atomic_add_f32 v6, v103, s[8:9] offset:8            // 000000007A1C: DD348008 00086706
	s_mov_b64 exec, s[36:37]                                   // 000000007A24: BEFE0124
	v_mov_b32_e32 v6, v74                                      // 000000007A28: 7E0C034A
	s_mov_b64 s[60:61], 0                                      // 000000007A2C: BEBC0180
	v_readlane_b32 s82, v3, 24                                 // 000000007A30: D2890052 00013103
	s_and_b32 s82, s82, 0xffffff                               // 000000007A38: 8652FF52 00FFFFFF
	s_cmp_lt_u32 s82, s66                                      // 000000007A40: BF0A4252
	s_cselect_b32 s20, s36, s60                                // 000000007A44: 85143C24
	v_readlane_b32 s82, v3, 25                                 // 000000007A48: D2890052 00013303
	s_and_b32 s82, s82, 0xffffff                               // 000000007A50: 8652FF52 00FFFFFF
	s_cmp_lt_u32 s82, s66                                      // 000000007A58: BF0A4252
	s_cselect_b32 s21, s36, s60                                // 000000007A5C: 85153C24
	s_mov_b64 exec, s[20:21]                                   // 000000007A60: BEFE0114
	global_atomic_add_f32 v6, v106, s[8:9] offset:8            // 000000007A64: DD348008 00086A06
	s_mov_b64 exec, s[36:37]                                   // 000000007A6C: BEFE0124
	v_mov_b32_e32 v6, v75                                      // 000000007A70: 7E0C034B
	s_mov_b64 s[60:61], 0                                      // 000000007A74: BEBC0180
	v_readlane_b32 s82, v3, 26                                 // 000000007A78: D2890052 00013503
	s_and_b32 s82, s82, 0xffffff                               // 000000007A80: 8652FF52 00FFFFFF
	s_cmp_lt_u32 s82, s66                                      // 000000007A88: BF0A4252
	s_cselect_b32 s20, s36, s60                                // 000000007A8C: 85143C24
	v_readlane_b32 s82, v3, 27                                 // 000000007A90: D2890052 00013703
	s_and_b32 s82, s82, 0xffffff                               // 000000007A98: 8652FF52 00FFFFFF
	s_cmp_lt_u32 s82, s66                                      // 000000007AA0: BF0A4252
	s_cselect_b32 s21, s36, s60                                // 000000007AA4: 85153C24
	s_mov_b64 exec, s[20:21]                                   // 000000007AA8: BEFE0114
	global_atomic_add_f32 v6, v107, s[8:9] offset:8            // 000000007AAC: DD348008 00086B06
	s_mov_b64 exec, s[36:37]                                   // 000000007AB4: BEFE0124
	v_mov_b32_e32 v6, v76                                      // 000000007AB8: 7E0C034C
	s_mov_b64 s[60:61], 0                                      // 000000007ABC: BEBC0180
	v_readlane_b32 s82, v3, 28                                 // 000000007AC0: D2890052 00013903
	s_and_b32 s82, s82, 0xffffff                               // 000000007AC8: 8652FF52 00FFFFFF
	s_cmp_lt_u32 s82, s66                                      // 000000007AD0: BF0A4252
	s_cselect_b32 s20, s36, s60                                // 000000007AD4: 85143C24
	v_readlane_b32 s82, v3, 29                                 // 000000007AD8: D2890052 00013B03
	s_and_b32 s82, s82, 0xffffff                               // 000000007AE0: 8652FF52 00FFFFFF
	s_cmp_lt_u32 s82, s66                                      // 000000007AE8: BF0A4252
	s_cselect_b32 s21, s36, s60                                // 000000007AEC: 85153C24
	s_mov_b64 exec, s[20:21]                                   // 000000007AF0: BEFE0114
	global_atomic_add_f32 v6, v110, s[8:9] offset:8            // 000000007AF4: DD348008 00086E06
	s_mov_b64 exec, s[36:37]                                   // 000000007AFC: BEFE0124
	v_mov_b32_e32 v6, v77                                      // 000000007B00: 7E0C034D
	s_mov_b64 s[60:61], 0                                      // 000000007B04: BEBC0180
	v_readlane_b32 s82, v3, 30                                 // 000000007B08: D2890052 00013D03
	s_and_b32 s82, s82, 0xffffff                               // 000000007B10: 8652FF52 00FFFFFF
	s_cmp_lt_u32 s82, s66                                      // 000000007B18: BF0A4252
	s_cselect_b32 s20, s36, s60                                // 000000007B1C: 85143C24
	v_readlane_b32 s82, v3, 31                                 // 000000007B20: D2890052 00013F03
	s_and_b32 s82, s82, 0xffffff                               // 000000007B28: 8652FF52 00FFFFFF
	s_cmp_lt_u32 s82, s66                                      // 000000007B30: BF0A4252
	s_cselect_b32 s21, s36, s60                                // 000000007B34: 85153C24
	s_mov_b64 exec, s[20:21]                                   // 000000007B38: BEFE0114
	global_atomic_add_f32 v6, v111, s[8:9] offset:8            // 000000007B3C: DD348008 00086F06
	s_mov_b64 exec, s[36:37]                                   // 000000007B44: BEFE0124
	ds_write_b64 v20, v[112:113]                               // 000000007B48: D89A0000 00007014
	ds_write_b64 v20, v[116:117] offset:2176                   // 000000007B50: D89A0880 00007414
	ds_write_b64 v20, v[120:121] offset:4352                   // 000000007B58: D89A1100 00007814
	ds_write_b64 v20, v[124:125] offset:6528                   // 000000007B60: D89A1980 00007C14
	ds_write_b64 v20, v[128:129] offset:8704                   // 000000007B68: D89A2200 00008014
	ds_write_b64 v20, v[132:133] offset:10880                  // 000000007B70: D89A2A80 00008414
	ds_write_b64 v20, v[136:137] offset:13056                  // 000000007B78: D89A3300 00008814
	ds_write_b64 v20, v[140:141] offset:15232                  // 000000007B80: D89A3B80 00008C14
	s_waitcnt lgkmcnt(0)                                       // 000000007B88: BF8CC07F
	s_barrier                                                  // 000000007B8C: BF8A0000
	ds_read_b32 v112, v21                                      // 000000007B90: D86C0000 70000015
	ds_read_b32 v113, v21 offset:64                            // 000000007B98: D86C0040 71000015
	ds_read_b32 v116, v21 offset:2176                          // 000000007BA0: D86C0880 74000015
	ds_read_b32 v117, v21 offset:2240                          // 000000007BA8: D86C08C0 75000015
	ds_read_b32 v120, v21 offset:4352                          // 000000007BB0: D86C1100 78000015
	ds_read_b32 v121, v21 offset:4416                          // 000000007BB8: D86C1140 79000015
	ds_read_b32 v124, v21 offset:6528                          // 000000007BC0: D86C1980 7C000015
	ds_read_b32 v125, v21 offset:6592                          // 000000007BC8: D86C19C0 7D000015
	ds_read_b32 v128, v21 offset:8704                          // 000000007BD0: D86C2200 80000015
	ds_read_b32 v129, v21 offset:8768                          // 000000007BD8: D86C2240 81000015
	ds_read_b32 v132, v21 offset:10880                         // 000000007BE0: D86C2A80 84000015
	ds_read_b32 v133, v21 offset:10944                         // 000000007BE8: D86C2AC0 85000015
	ds_read_b32 v136, v21 offset:13056                         // 000000007BF0: D86C3300 88000015
	ds_read_b32 v137, v21 offset:13120                         // 000000007BF8: D86C3340 89000015
	ds_read_b32 v140, v21 offset:15232                         // 000000007C00: D86C3B80 8C000015
	ds_read_b32 v141, v21 offset:15296                         // 000000007C08: D86C3BC0 8D000015
	s_mul_i32 s60, s65, 4                                      // 000000007C10: 923C8441
	s_add_u32 s8, s60, s8                                      // 000000007C14: 8008083C
	s_addc_u32 s9, 0, s9                                       // 000000007C18: 82090980
	s_waitcnt lgkmcnt(0)                                       // 000000007C1C: BF8CC07F
	v_mov_b32_e32 v7, 0                                        // 000000007C20: 7E0E0280
	s_mov_b64 exec, s[36:37]                                   // 000000007C24: BEFE0124
	v_mov_b32_e32 v6, v62                                      // 000000007C28: 7E0C033E
	s_mov_b64 s[60:61], 0                                      // 000000007C2C: BEBC0180
	v_readlane_b32 s82, v3, 0                                  // 000000007C30: D2890052 00010103
	s_and_b32 s82, s82, 0xffffff                               // 000000007C38: 8652FF52 00FFFFFF
	s_cmp_lt_u32 s82, s66                                      // 000000007C40: BF0A4252
	s_cselect_b32 s20, s36, s60                                // 000000007C44: 85143C24
	v_readlane_b32 s82, v3, 1                                  // 000000007C48: D2890052 00010303
	s_and_b32 s82, s82, 0xffffff                               // 000000007C50: 8652FF52 00FFFFFF
	s_cmp_lt_u32 s82, s66                                      // 000000007C58: BF0A4252
	s_cselect_b32 s21, s36, s60                                // 000000007C5C: 85153C24
	s_mov_b64 exec, s[20:21]                                   // 000000007C60: BEFE0114
	global_atomic_add_f32 v6, v112, s[8:9]                     // 000000007C64: DD348000 00087006
	s_mov_b64 exec, s[36:37]                                   // 000000007C6C: BEFE0124
	v_mov_b32_e32 v6, v63                                      // 000000007C70: 7E0C033F
	s_mov_b64 s[60:61], 0                                      // 000000007C74: BEBC0180
	v_readlane_b32 s82, v3, 2                                  // 000000007C78: D2890052 00010503
	s_and_b32 s82, s82, 0xffffff                               // 000000007C80: 8652FF52 00FFFFFF
	s_cmp_lt_u32 s82, s66                                      // 000000007C88: BF0A4252
	s_cselect_b32 s20, s36, s60                                // 000000007C8C: 85143C24
	v_readlane_b32 s82, v3, 3                                  // 000000007C90: D2890052 00010703
	s_and_b32 s82, s82, 0xffffff                               // 000000007C98: 8652FF52 00FFFFFF
	s_cmp_lt_u32 s82, s66                                      // 000000007CA0: BF0A4252
	s_cselect_b32 s21, s36, s60                                // 000000007CA4: 85153C24
	s_mov_b64 exec, s[20:21]                                   // 000000007CA8: BEFE0114
	global_atomic_add_f32 v6, v113, s[8:9]                     // 000000007CAC: DD348000 00087106
	s_mov_b64 exec, s[36:37]                                   // 000000007CB4: BEFE0124
	v_mov_b32_e32 v6, v64                                      // 000000007CB8: 7E0C0340
	s_mov_b64 s[60:61], 0                                      // 000000007CBC: BEBC0180
	v_readlane_b32 s82, v3, 4                                  // 000000007CC0: D2890052 00010903
	s_and_b32 s82, s82, 0xffffff                               // 000000007CC8: 8652FF52 00FFFFFF
	s_cmp_lt_u32 s82, s66                                      // 000000007CD0: BF0A4252
	s_cselect_b32 s20, s36, s60                                // 000000007CD4: 85143C24
	v_readlane_b32 s82, v3, 5                                  // 000000007CD8: D2890052 00010B03
	s_and_b32 s82, s82, 0xffffff                               // 000000007CE0: 8652FF52 00FFFFFF
	s_cmp_lt_u32 s82, s66                                      // 000000007CE8: BF0A4252
	s_cselect_b32 s21, s36, s60                                // 000000007CEC: 85153C24
	s_mov_b64 exec, s[20:21]                                   // 000000007CF0: BEFE0114
	global_atomic_add_f32 v6, v116, s[8:9]                     // 000000007CF4: DD348000 00087406
	s_mov_b64 exec, s[36:37]                                   // 000000007CFC: BEFE0124
	v_mov_b32_e32 v6, v65                                      // 000000007D00: 7E0C0341
	s_mov_b64 s[60:61], 0                                      // 000000007D04: BEBC0180
	v_readlane_b32 s82, v3, 6                                  // 000000007D08: D2890052 00010D03
	s_and_b32 s82, s82, 0xffffff                               // 000000007D10: 8652FF52 00FFFFFF
	s_cmp_lt_u32 s82, s66                                      // 000000007D18: BF0A4252
	s_cselect_b32 s20, s36, s60                                // 000000007D1C: 85143C24
	v_readlane_b32 s82, v3, 7                                  // 000000007D20: D2890052 00010F03
	s_and_b32 s82, s82, 0xffffff                               // 000000007D28: 8652FF52 00FFFFFF
	s_cmp_lt_u32 s82, s66                                      // 000000007D30: BF0A4252
	s_cselect_b32 s21, s36, s60                                // 000000007D34: 85153C24
	s_mov_b64 exec, s[20:21]                                   // 000000007D38: BEFE0114
	global_atomic_add_f32 v6, v117, s[8:9]                     // 000000007D3C: DD348000 00087506
	s_mov_b64 exec, s[36:37]                                   // 000000007D44: BEFE0124
	v_mov_b32_e32 v6, v66                                      // 000000007D48: 7E0C0342
	s_mov_b64 s[60:61], 0                                      // 000000007D4C: BEBC0180
	v_readlane_b32 s82, v3, 8                                  // 000000007D50: D2890052 00011103
	s_and_b32 s82, s82, 0xffffff                               // 000000007D58: 8652FF52 00FFFFFF
	s_cmp_lt_u32 s82, s66                                      // 000000007D60: BF0A4252
	s_cselect_b32 s20, s36, s60                                // 000000007D64: 85143C24
	v_readlane_b32 s82, v3, 9                                  // 000000007D68: D2890052 00011303
	s_and_b32 s82, s82, 0xffffff                               // 000000007D70: 8652FF52 00FFFFFF
	s_cmp_lt_u32 s82, s66                                      // 000000007D78: BF0A4252
	s_cselect_b32 s21, s36, s60                                // 000000007D7C: 85153C24
	s_mov_b64 exec, s[20:21]                                   // 000000007D80: BEFE0114
	global_atomic_add_f32 v6, v120, s[8:9]                     // 000000007D84: DD348000 00087806
	s_mov_b64 exec, s[36:37]                                   // 000000007D8C: BEFE0124
	v_mov_b32_e32 v6, v67                                      // 000000007D90: 7E0C0343
	s_mov_b64 s[60:61], 0                                      // 000000007D94: BEBC0180
	v_readlane_b32 s82, v3, 10                                 // 000000007D98: D2890052 00011503
	s_and_b32 s82, s82, 0xffffff                               // 000000007DA0: 8652FF52 00FFFFFF
	s_cmp_lt_u32 s82, s66                                      // 000000007DA8: BF0A4252
	s_cselect_b32 s20, s36, s60                                // 000000007DAC: 85143C24
	v_readlane_b32 s82, v3, 11                                 // 000000007DB0: D2890052 00011703
	s_and_b32 s82, s82, 0xffffff                               // 000000007DB8: 8652FF52 00FFFFFF
	s_cmp_lt_u32 s82, s66                                      // 000000007DC0: BF0A4252
	s_cselect_b32 s21, s36, s60                                // 000000007DC4: 85153C24
	s_mov_b64 exec, s[20:21]                                   // 000000007DC8: BEFE0114
	global_atomic_add_f32 v6, v121, s[8:9]                     // 000000007DCC: DD348000 00087906
	s_mov_b64 exec, s[36:37]                                   // 000000007DD4: BEFE0124
	v_mov_b32_e32 v6, v68                                      // 000000007DD8: 7E0C0344
	s_mov_b64 s[60:61], 0                                      // 000000007DDC: BEBC0180
	v_readlane_b32 s82, v3, 12                                 // 000000007DE0: D2890052 00011903
	s_and_b32 s82, s82, 0xffffff                               // 000000007DE8: 8652FF52 00FFFFFF
	s_cmp_lt_u32 s82, s66                                      // 000000007DF0: BF0A4252
	s_cselect_b32 s20, s36, s60                                // 000000007DF4: 85143C24
	v_readlane_b32 s82, v3, 13                                 // 000000007DF8: D2890052 00011B03
	s_and_b32 s82, s82, 0xffffff                               // 000000007E00: 8652FF52 00FFFFFF
	s_cmp_lt_u32 s82, s66                                      // 000000007E08: BF0A4252
	s_cselect_b32 s21, s36, s60                                // 000000007E0C: 85153C24
	s_mov_b64 exec, s[20:21]                                   // 000000007E10: BEFE0114
	global_atomic_add_f32 v6, v124, s[8:9]                     // 000000007E14: DD348000 00087C06
	s_mov_b64 exec, s[36:37]                                   // 000000007E1C: BEFE0124
	v_mov_b32_e32 v6, v69                                      // 000000007E20: 7E0C0345
	s_mov_b64 s[60:61], 0                                      // 000000007E24: BEBC0180
	v_readlane_b32 s82, v3, 14                                 // 000000007E28: D2890052 00011D03
	s_and_b32 s82, s82, 0xffffff                               // 000000007E30: 8652FF52 00FFFFFF
	s_cmp_lt_u32 s82, s66                                      // 000000007E38: BF0A4252
	s_cselect_b32 s20, s36, s60                                // 000000007E3C: 85143C24
	v_readlane_b32 s82, v3, 15                                 // 000000007E40: D2890052 00011F03
	s_and_b32 s82, s82, 0xffffff                               // 000000007E48: 8652FF52 00FFFFFF
	s_cmp_lt_u32 s82, s66                                      // 000000007E50: BF0A4252
	s_cselect_b32 s21, s36, s60                                // 000000007E54: 85153C24
	s_mov_b64 exec, s[20:21]                                   // 000000007E58: BEFE0114
	global_atomic_add_f32 v6, v125, s[8:9]                     // 000000007E5C: DD348000 00087D06
	s_mov_b64 exec, s[36:37]                                   // 000000007E64: BEFE0124
	v_mov_b32_e32 v6, v70                                      // 000000007E68: 7E0C0346
	s_mov_b64 s[60:61], 0                                      // 000000007E6C: BEBC0180
	v_readlane_b32 s82, v3, 16                                 // 000000007E70: D2890052 00012103
	s_and_b32 s82, s82, 0xffffff                               // 000000007E78: 8652FF52 00FFFFFF
	s_cmp_lt_u32 s82, s66                                      // 000000007E80: BF0A4252
	s_cselect_b32 s20, s36, s60                                // 000000007E84: 85143C24
	v_readlane_b32 s82, v3, 17                                 // 000000007E88: D2890052 00012303
	s_and_b32 s82, s82, 0xffffff                               // 000000007E90: 8652FF52 00FFFFFF
	s_cmp_lt_u32 s82, s66                                      // 000000007E98: BF0A4252
	s_cselect_b32 s21, s36, s60                                // 000000007E9C: 85153C24
	s_mov_b64 exec, s[20:21]                                   // 000000007EA0: BEFE0114
	global_atomic_add_f32 v6, v128, s[8:9]                     // 000000007EA4: DD348000 00088006
	s_mov_b64 exec, s[36:37]                                   // 000000007EAC: BEFE0124
	v_mov_b32_e32 v6, v71                                      // 000000007EB0: 7E0C0347
	s_mov_b64 s[60:61], 0                                      // 000000007EB4: BEBC0180
	v_readlane_b32 s82, v3, 18                                 // 000000007EB8: D2890052 00012503
	s_and_b32 s82, s82, 0xffffff                               // 000000007EC0: 8652FF52 00FFFFFF
	s_cmp_lt_u32 s82, s66                                      // 000000007EC8: BF0A4252
	s_cselect_b32 s20, s36, s60                                // 000000007ECC: 85143C24
	v_readlane_b32 s82, v3, 19                                 // 000000007ED0: D2890052 00012703
	s_and_b32 s82, s82, 0xffffff                               // 000000007ED8: 8652FF52 00FFFFFF
	s_cmp_lt_u32 s82, s66                                      // 000000007EE0: BF0A4252
	s_cselect_b32 s21, s36, s60                                // 000000007EE4: 85153C24
	s_mov_b64 exec, s[20:21]                                   // 000000007EE8: BEFE0114
	global_atomic_add_f32 v6, v129, s[8:9]                     // 000000007EEC: DD348000 00088106
	s_mov_b64 exec, s[36:37]                                   // 000000007EF4: BEFE0124
	v_mov_b32_e32 v6, v72                                      // 000000007EF8: 7E0C0348
	s_mov_b64 s[60:61], 0                                      // 000000007EFC: BEBC0180
	v_readlane_b32 s82, v3, 20                                 // 000000007F00: D2890052 00012903
	s_and_b32 s82, s82, 0xffffff                               // 000000007F08: 8652FF52 00FFFFFF
	s_cmp_lt_u32 s82, s66                                      // 000000007F10: BF0A4252
	s_cselect_b32 s20, s36, s60                                // 000000007F14: 85143C24
	v_readlane_b32 s82, v3, 21                                 // 000000007F18: D2890052 00012B03
	s_and_b32 s82, s82, 0xffffff                               // 000000007F20: 8652FF52 00FFFFFF
	s_cmp_lt_u32 s82, s66                                      // 000000007F28: BF0A4252
	s_cselect_b32 s21, s36, s60                                // 000000007F2C: 85153C24
	s_mov_b64 exec, s[20:21]                                   // 000000007F30: BEFE0114
	global_atomic_add_f32 v6, v132, s[8:9]                     // 000000007F34: DD348000 00088406
	s_mov_b64 exec, s[36:37]                                   // 000000007F3C: BEFE0124
	v_mov_b32_e32 v6, v73                                      // 000000007F40: 7E0C0349
	s_mov_b64 s[60:61], 0                                      // 000000007F44: BEBC0180
	v_readlane_b32 s82, v3, 22                                 // 000000007F48: D2890052 00012D03
	s_and_b32 s82, s82, 0xffffff                               // 000000007F50: 8652FF52 00FFFFFF
	s_cmp_lt_u32 s82, s66                                      // 000000007F58: BF0A4252
	s_cselect_b32 s20, s36, s60                                // 000000007F5C: 85143C24
	v_readlane_b32 s82, v3, 23                                 // 000000007F60: D2890052 00012F03
	s_and_b32 s82, s82, 0xffffff                               // 000000007F68: 8652FF52 00FFFFFF
	s_cmp_lt_u32 s82, s66                                      // 000000007F70: BF0A4252
	s_cselect_b32 s21, s36, s60                                // 000000007F74: 85153C24
	s_mov_b64 exec, s[20:21]                                   // 000000007F78: BEFE0114
	global_atomic_add_f32 v6, v133, s[8:9]                     // 000000007F7C: DD348000 00088506
	s_mov_b64 exec, s[36:37]                                   // 000000007F84: BEFE0124
	v_mov_b32_e32 v6, v74                                      // 000000007F88: 7E0C034A
	s_mov_b64 s[60:61], 0                                      // 000000007F8C: BEBC0180
	v_readlane_b32 s82, v3, 24                                 // 000000007F90: D2890052 00013103
	s_and_b32 s82, s82, 0xffffff                               // 000000007F98: 8652FF52 00FFFFFF
	s_cmp_lt_u32 s82, s66                                      // 000000007FA0: BF0A4252
	s_cselect_b32 s20, s36, s60                                // 000000007FA4: 85143C24
	v_readlane_b32 s82, v3, 25                                 // 000000007FA8: D2890052 00013303
	s_and_b32 s82, s82, 0xffffff                               // 000000007FB0: 8652FF52 00FFFFFF
	s_cmp_lt_u32 s82, s66                                      // 000000007FB8: BF0A4252
	s_cselect_b32 s21, s36, s60                                // 000000007FBC: 85153C24
	s_mov_b64 exec, s[20:21]                                   // 000000007FC0: BEFE0114
	global_atomic_add_f32 v6, v136, s[8:9]                     // 000000007FC4: DD348000 00088806
	s_mov_b64 exec, s[36:37]                                   // 000000007FCC: BEFE0124
	v_mov_b32_e32 v6, v75                                      // 000000007FD0: 7E0C034B
	s_mov_b64 s[60:61], 0                                      // 000000007FD4: BEBC0180
	v_readlane_b32 s82, v3, 26                                 // 000000007FD8: D2890052 00013503
	s_and_b32 s82, s82, 0xffffff                               // 000000007FE0: 8652FF52 00FFFFFF
	s_cmp_lt_u32 s82, s66                                      // 000000007FE8: BF0A4252
	s_cselect_b32 s20, s36, s60                                // 000000007FEC: 85143C24
	v_readlane_b32 s82, v3, 27                                 // 000000007FF0: D2890052 00013703
	s_and_b32 s82, s82, 0xffffff                               // 000000007FF8: 8652FF52 00FFFFFF
	s_cmp_lt_u32 s82, s66                                      // 000000008000: BF0A4252
	s_cselect_b32 s21, s36, s60                                // 000000008004: 85153C24
	s_mov_b64 exec, s[20:21]                                   // 000000008008: BEFE0114
	global_atomic_add_f32 v6, v137, s[8:9]                     // 00000000800C: DD348000 00088906
	s_mov_b64 exec, s[36:37]                                   // 000000008014: BEFE0124
	v_mov_b32_e32 v6, v76                                      // 000000008018: 7E0C034C
	s_mov_b64 s[60:61], 0                                      // 00000000801C: BEBC0180
	v_readlane_b32 s82, v3, 28                                 // 000000008020: D2890052 00013903
	s_and_b32 s82, s82, 0xffffff                               // 000000008028: 8652FF52 00FFFFFF
	s_cmp_lt_u32 s82, s66                                      // 000000008030: BF0A4252
	s_cselect_b32 s20, s36, s60                                // 000000008034: 85143C24
	v_readlane_b32 s82, v3, 29                                 // 000000008038: D2890052 00013B03
	s_and_b32 s82, s82, 0xffffff                               // 000000008040: 8652FF52 00FFFFFF
	s_cmp_lt_u32 s82, s66                                      // 000000008048: BF0A4252
	s_cselect_b32 s21, s36, s60                                // 00000000804C: 85153C24
	s_mov_b64 exec, s[20:21]                                   // 000000008050: BEFE0114
	global_atomic_add_f32 v6, v140, s[8:9]                     // 000000008054: DD348000 00088C06
	s_mov_b64 exec, s[36:37]                                   // 00000000805C: BEFE0124
	v_mov_b32_e32 v6, v77                                      // 000000008060: 7E0C034D
	s_mov_b64 s[60:61], 0                                      // 000000008064: BEBC0180
	v_readlane_b32 s82, v3, 30                                 // 000000008068: D2890052 00013D03
	s_and_b32 s82, s82, 0xffffff                               // 000000008070: 8652FF52 00FFFFFF
	s_cmp_lt_u32 s82, s66                                      // 000000008078: BF0A4252
	s_cselect_b32 s20, s36, s60                                // 00000000807C: 85143C24
	v_readlane_b32 s82, v3, 31                                 // 000000008080: D2890052 00013F03
	s_and_b32 s82, s82, 0xffffff                               // 000000008088: 8652FF52 00FFFFFF
	s_cmp_lt_u32 s82, s66                                      // 000000008090: BF0A4252
	s_cselect_b32 s21, s36, s60                                // 000000008094: 85153C24
	s_mov_b64 exec, s[20:21]                                   // 000000008098: BEFE0114
	global_atomic_add_f32 v6, v141, s[8:9]                     // 00000000809C: DD348000 00088D06
	s_mov_b64 exec, s[36:37]                                   // 0000000080A4: BEFE0124
	ds_write_b64 v20, v[114:115]                               // 0000000080A8: D89A0000 00007214
	ds_write_b64 v20, v[118:119] offset:2176                   // 0000000080B0: D89A0880 00007614
	ds_write_b64 v20, v[122:123] offset:4352                   // 0000000080B8: D89A1100 00007A14
	ds_write_b64 v20, v[126:127] offset:6528                   // 0000000080C0: D89A1980 00007E14
	ds_write_b64 v20, v[130:131] offset:8704                   // 0000000080C8: D89A2200 00008214
	ds_write_b64 v20, v[134:135] offset:10880                  // 0000000080D0: D89A2A80 00008614
	ds_write_b64 v20, v[138:139] offset:13056                  // 0000000080D8: D89A3300 00008A14
	ds_write_b64 v20, v[142:143] offset:15232                  // 0000000080E0: D89A3B80 00008E14
	s_waitcnt lgkmcnt(0)                                       // 0000000080E8: BF8CC07F
	s_barrier                                                  // 0000000080EC: BF8A0000
	ds_read_b32 v114, v21                                      // 0000000080F0: D86C0000 72000015
	ds_read_b32 v115, v21 offset:64                            // 0000000080F8: D86C0040 73000015
	ds_read_b32 v118, v21 offset:2176                          // 000000008100: D86C0880 76000015
	ds_read_b32 v119, v21 offset:2240                          // 000000008108: D86C08C0 77000015
	ds_read_b32 v122, v21 offset:4352                          // 000000008110: D86C1100 7A000015
	ds_read_b32 v123, v21 offset:4416                          // 000000008118: D86C1140 7B000015
	ds_read_b32 v126, v21 offset:6528                          // 000000008120: D86C1980 7E000015
	ds_read_b32 v127, v21 offset:6592                          // 000000008128: D86C19C0 7F000015
	ds_read_b32 v130, v21 offset:8704                          // 000000008130: D86C2200 82000015
	ds_read_b32 v131, v21 offset:8768                          // 000000008138: D86C2240 83000015
	ds_read_b32 v134, v21 offset:10880                         // 000000008140: D86C2A80 86000015
	ds_read_b32 v135, v21 offset:10944                         // 000000008148: D86C2AC0 87000015
	ds_read_b32 v138, v21 offset:13056                         // 000000008150: D86C3300 8A000015
	ds_read_b32 v139, v21 offset:13120                         // 000000008158: D86C3340 8B000015
	ds_read_b32 v142, v21 offset:15232                         // 000000008160: D86C3B80 8E000015
	ds_read_b32 v143, v21 offset:15296                         // 000000008168: D86C3BC0 8F000015
	s_waitcnt lgkmcnt(0)                                       // 000000008170: BF8CC07F
	v_mov_b32_e32 v7, 0                                        // 000000008174: 7E0E0280
	s_mov_b64 exec, s[36:37]                                   // 000000008178: BEFE0124
	v_mov_b32_e32 v6, v62                                      // 00000000817C: 7E0C033E
	s_mov_b64 s[60:61], 0                                      // 000000008180: BEBC0180
	v_readlane_b32 s82, v3, 0                                  // 000000008184: D2890052 00010103
	s_and_b32 s82, s82, 0xffffff                               // 00000000818C: 8652FF52 00FFFFFF
	s_cmp_lt_u32 s82, s66                                      // 000000008194: BF0A4252
	s_cselect_b32 s20, s36, s60                                // 000000008198: 85143C24
	v_readlane_b32 s82, v3, 1                                  // 00000000819C: D2890052 00010303
	s_and_b32 s82, s82, 0xffffff                               // 0000000081A4: 8652FF52 00FFFFFF
	s_cmp_lt_u32 s82, s66                                      // 0000000081AC: BF0A4252
	s_cselect_b32 s21, s36, s60                                // 0000000081B0: 85153C24
	s_mov_b64 exec, s[20:21]                                   // 0000000081B4: BEFE0114
	global_atomic_add_f32 v6, v114, s[8:9] offset:8            // 0000000081B8: DD348008 00087206
	s_mov_b64 exec, s[36:37]                                   // 0000000081C0: BEFE0124
	v_mov_b32_e32 v6, v63                                      // 0000000081C4: 7E0C033F
	s_mov_b64 s[60:61], 0                                      // 0000000081C8: BEBC0180
	v_readlane_b32 s82, v3, 2                                  // 0000000081CC: D2890052 00010503
	s_and_b32 s82, s82, 0xffffff                               // 0000000081D4: 8652FF52 00FFFFFF
	s_cmp_lt_u32 s82, s66                                      // 0000000081DC: BF0A4252
	s_cselect_b32 s20, s36, s60                                // 0000000081E0: 85143C24
	v_readlane_b32 s82, v3, 3                                  // 0000000081E4: D2890052 00010703
	s_and_b32 s82, s82, 0xffffff                               // 0000000081EC: 8652FF52 00FFFFFF
	s_cmp_lt_u32 s82, s66                                      // 0000000081F4: BF0A4252
	s_cselect_b32 s21, s36, s60                                // 0000000081F8: 85153C24
	s_mov_b64 exec, s[20:21]                                   // 0000000081FC: BEFE0114
	global_atomic_add_f32 v6, v115, s[8:9] offset:8            // 000000008200: DD348008 00087306
	s_mov_b64 exec, s[36:37]                                   // 000000008208: BEFE0124
	v_mov_b32_e32 v6, v64                                      // 00000000820C: 7E0C0340
	s_mov_b64 s[60:61], 0                                      // 000000008210: BEBC0180
	v_readlane_b32 s82, v3, 4                                  // 000000008214: D2890052 00010903
	s_and_b32 s82, s82, 0xffffff                               // 00000000821C: 8652FF52 00FFFFFF
	s_cmp_lt_u32 s82, s66                                      // 000000008224: BF0A4252
	s_cselect_b32 s20, s36, s60                                // 000000008228: 85143C24
	v_readlane_b32 s82, v3, 5                                  // 00000000822C: D2890052 00010B03
	s_and_b32 s82, s82, 0xffffff                               // 000000008234: 8652FF52 00FFFFFF
	s_cmp_lt_u32 s82, s66                                      // 00000000823C: BF0A4252
	s_cselect_b32 s21, s36, s60                                // 000000008240: 85153C24
	s_mov_b64 exec, s[20:21]                                   // 000000008244: BEFE0114
	global_atomic_add_f32 v6, v118, s[8:9] offset:8            // 000000008248: DD348008 00087606
	s_mov_b64 exec, s[36:37]                                   // 000000008250: BEFE0124
	v_mov_b32_e32 v6, v65                                      // 000000008254: 7E0C0341
	s_mov_b64 s[60:61], 0                                      // 000000008258: BEBC0180
	v_readlane_b32 s82, v3, 6                                  // 00000000825C: D2890052 00010D03
	s_and_b32 s82, s82, 0xffffff                               // 000000008264: 8652FF52 00FFFFFF
	s_cmp_lt_u32 s82, s66                                      // 00000000826C: BF0A4252
	s_cselect_b32 s20, s36, s60                                // 000000008270: 85143C24
	v_readlane_b32 s82, v3, 7                                  // 000000008274: D2890052 00010F03
	s_and_b32 s82, s82, 0xffffff                               // 00000000827C: 8652FF52 00FFFFFF
	s_cmp_lt_u32 s82, s66                                      // 000000008284: BF0A4252
	s_cselect_b32 s21, s36, s60                                // 000000008288: 85153C24
	s_mov_b64 exec, s[20:21]                                   // 00000000828C: BEFE0114
	global_atomic_add_f32 v6, v119, s[8:9] offset:8            // 000000008290: DD348008 00087706
	s_mov_b64 exec, s[36:37]                                   // 000000008298: BEFE0124
	v_mov_b32_e32 v6, v66                                      // 00000000829C: 7E0C0342
	s_mov_b64 s[60:61], 0                                      // 0000000082A0: BEBC0180
	v_readlane_b32 s82, v3, 8                                  // 0000000082A4: D2890052 00011103
	s_and_b32 s82, s82, 0xffffff                               // 0000000082AC: 8652FF52 00FFFFFF
	s_cmp_lt_u32 s82, s66                                      // 0000000082B4: BF0A4252
	s_cselect_b32 s20, s36, s60                                // 0000000082B8: 85143C24
	v_readlane_b32 s82, v3, 9                                  // 0000000082BC: D2890052 00011303
	s_and_b32 s82, s82, 0xffffff                               // 0000000082C4: 8652FF52 00FFFFFF
	s_cmp_lt_u32 s82, s66                                      // 0000000082CC: BF0A4252
	s_cselect_b32 s21, s36, s60                                // 0000000082D0: 85153C24
	s_mov_b64 exec, s[20:21]                                   // 0000000082D4: BEFE0114
	global_atomic_add_f32 v6, v122, s[8:9] offset:8            // 0000000082D8: DD348008 00087A06
	s_mov_b64 exec, s[36:37]                                   // 0000000082E0: BEFE0124
	v_mov_b32_e32 v6, v67                                      // 0000000082E4: 7E0C0343
	s_mov_b64 s[60:61], 0                                      // 0000000082E8: BEBC0180
	v_readlane_b32 s82, v3, 10                                 // 0000000082EC: D2890052 00011503
	s_and_b32 s82, s82, 0xffffff                               // 0000000082F4: 8652FF52 00FFFFFF
	s_cmp_lt_u32 s82, s66                                      // 0000000082FC: BF0A4252
	s_cselect_b32 s20, s36, s60                                // 000000008300: 85143C24
	v_readlane_b32 s82, v3, 11                                 // 000000008304: D2890052 00011703
	s_and_b32 s82, s82, 0xffffff                               // 00000000830C: 8652FF52 00FFFFFF
	s_cmp_lt_u32 s82, s66                                      // 000000008314: BF0A4252
	s_cselect_b32 s21, s36, s60                                // 000000008318: 85153C24
	s_mov_b64 exec, s[20:21]                                   // 00000000831C: BEFE0114
	global_atomic_add_f32 v6, v123, s[8:9] offset:8            // 000000008320: DD348008 00087B06
	s_mov_b64 exec, s[36:37]                                   // 000000008328: BEFE0124
	v_mov_b32_e32 v6, v68                                      // 00000000832C: 7E0C0344
	s_mov_b64 s[60:61], 0                                      // 000000008330: BEBC0180
	v_readlane_b32 s82, v3, 12                                 // 000000008334: D2890052 00011903
	s_and_b32 s82, s82, 0xffffff                               // 00000000833C: 8652FF52 00FFFFFF
	s_cmp_lt_u32 s82, s66                                      // 000000008344: BF0A4252
	s_cselect_b32 s20, s36, s60                                // 000000008348: 85143C24
	v_readlane_b32 s82, v3, 13                                 // 00000000834C: D2890052 00011B03
	s_and_b32 s82, s82, 0xffffff                               // 000000008354: 8652FF52 00FFFFFF
	s_cmp_lt_u32 s82, s66                                      // 00000000835C: BF0A4252
	s_cselect_b32 s21, s36, s60                                // 000000008360: 85153C24
	s_mov_b64 exec, s[20:21]                                   // 000000008364: BEFE0114
	global_atomic_add_f32 v6, v126, s[8:9] offset:8            // 000000008368: DD348008 00087E06
	s_mov_b64 exec, s[36:37]                                   // 000000008370: BEFE0124
	v_mov_b32_e32 v6, v69                                      // 000000008374: 7E0C0345
	s_mov_b64 s[60:61], 0                                      // 000000008378: BEBC0180
	v_readlane_b32 s82, v3, 14                                 // 00000000837C: D2890052 00011D03
	s_and_b32 s82, s82, 0xffffff                               // 000000008384: 8652FF52 00FFFFFF
	s_cmp_lt_u32 s82, s66                                      // 00000000838C: BF0A4252
	s_cselect_b32 s20, s36, s60                                // 000000008390: 85143C24
	v_readlane_b32 s82, v3, 15                                 // 000000008394: D2890052 00011F03
	s_and_b32 s82, s82, 0xffffff                               // 00000000839C: 8652FF52 00FFFFFF
	s_cmp_lt_u32 s82, s66                                      // 0000000083A4: BF0A4252
	s_cselect_b32 s21, s36, s60                                // 0000000083A8: 85153C24
	s_mov_b64 exec, s[20:21]                                   // 0000000083AC: BEFE0114
	global_atomic_add_f32 v6, v127, s[8:9] offset:8            // 0000000083B0: DD348008 00087F06
	s_mov_b64 exec, s[36:37]                                   // 0000000083B8: BEFE0124
	v_mov_b32_e32 v6, v70                                      // 0000000083BC: 7E0C0346
	s_mov_b64 s[60:61], 0                                      // 0000000083C0: BEBC0180
	v_readlane_b32 s82, v3, 16                                 // 0000000083C4: D2890052 00012103
	s_and_b32 s82, s82, 0xffffff                               // 0000000083CC: 8652FF52 00FFFFFF
	s_cmp_lt_u32 s82, s66                                      // 0000000083D4: BF0A4252
	s_cselect_b32 s20, s36, s60                                // 0000000083D8: 85143C24
	v_readlane_b32 s82, v3, 17                                 // 0000000083DC: D2890052 00012303
	s_and_b32 s82, s82, 0xffffff                               // 0000000083E4: 8652FF52 00FFFFFF
	s_cmp_lt_u32 s82, s66                                      // 0000000083EC: BF0A4252
	s_cselect_b32 s21, s36, s60                                // 0000000083F0: 85153C24
	s_mov_b64 exec, s[20:21]                                   // 0000000083F4: BEFE0114
	global_atomic_add_f32 v6, v130, s[8:9] offset:8            // 0000000083F8: DD348008 00088206
	s_mov_b64 exec, s[36:37]                                   // 000000008400: BEFE0124
	v_mov_b32_e32 v6, v71                                      // 000000008404: 7E0C0347
	s_mov_b64 s[60:61], 0                                      // 000000008408: BEBC0180
	v_readlane_b32 s82, v3, 18                                 // 00000000840C: D2890052 00012503
	s_and_b32 s82, s82, 0xffffff                               // 000000008414: 8652FF52 00FFFFFF
	s_cmp_lt_u32 s82, s66                                      // 00000000841C: BF0A4252
	s_cselect_b32 s20, s36, s60                                // 000000008420: 85143C24
	v_readlane_b32 s82, v3, 19                                 // 000000008424: D2890052 00012703
	s_and_b32 s82, s82, 0xffffff                               // 00000000842C: 8652FF52 00FFFFFF
	s_cmp_lt_u32 s82, s66                                      // 000000008434: BF0A4252
	s_cselect_b32 s21, s36, s60                                // 000000008438: 85153C24
	s_mov_b64 exec, s[20:21]                                   // 00000000843C: BEFE0114
	global_atomic_add_f32 v6, v131, s[8:9] offset:8            // 000000008440: DD348008 00088306
	s_mov_b64 exec, s[36:37]                                   // 000000008448: BEFE0124
	v_mov_b32_e32 v6, v72                                      // 00000000844C: 7E0C0348
	s_mov_b64 s[60:61], 0                                      // 000000008450: BEBC0180
	v_readlane_b32 s82, v3, 20                                 // 000000008454: D2890052 00012903
	s_and_b32 s82, s82, 0xffffff                               // 00000000845C: 8652FF52 00FFFFFF
	s_cmp_lt_u32 s82, s66                                      // 000000008464: BF0A4252
	s_cselect_b32 s20, s36, s60                                // 000000008468: 85143C24
	v_readlane_b32 s82, v3, 21                                 // 00000000846C: D2890052 00012B03
	s_and_b32 s82, s82, 0xffffff                               // 000000008474: 8652FF52 00FFFFFF
	s_cmp_lt_u32 s82, s66                                      // 00000000847C: BF0A4252
	s_cselect_b32 s21, s36, s60                                // 000000008480: 85153C24
	s_mov_b64 exec, s[20:21]                                   // 000000008484: BEFE0114
	global_atomic_add_f32 v6, v134, s[8:9] offset:8            // 000000008488: DD348008 00088606
	s_mov_b64 exec, s[36:37]                                   // 000000008490: BEFE0124
	v_mov_b32_e32 v6, v73                                      // 000000008494: 7E0C0349
	s_mov_b64 s[60:61], 0                                      // 000000008498: BEBC0180
	v_readlane_b32 s82, v3, 22                                 // 00000000849C: D2890052 00012D03
	s_and_b32 s82, s82, 0xffffff                               // 0000000084A4: 8652FF52 00FFFFFF
	s_cmp_lt_u32 s82, s66                                      // 0000000084AC: BF0A4252
	s_cselect_b32 s20, s36, s60                                // 0000000084B0: 85143C24
	v_readlane_b32 s82, v3, 23                                 // 0000000084B4: D2890052 00012F03
	s_and_b32 s82, s82, 0xffffff                               // 0000000084BC: 8652FF52 00FFFFFF
	s_cmp_lt_u32 s82, s66                                      // 0000000084C4: BF0A4252
	s_cselect_b32 s21, s36, s60                                // 0000000084C8: 85153C24
	s_mov_b64 exec, s[20:21]                                   // 0000000084CC: BEFE0114
	global_atomic_add_f32 v6, v135, s[8:9] offset:8            // 0000000084D0: DD348008 00088706
	s_mov_b64 exec, s[36:37]                                   // 0000000084D8: BEFE0124
	v_mov_b32_e32 v6, v74                                      // 0000000084DC: 7E0C034A
	s_mov_b64 s[60:61], 0                                      // 0000000084E0: BEBC0180
	v_readlane_b32 s82, v3, 24                                 // 0000000084E4: D2890052 00013103
	s_and_b32 s82, s82, 0xffffff                               // 0000000084EC: 8652FF52 00FFFFFF
	s_cmp_lt_u32 s82, s66                                      // 0000000084F4: BF0A4252
	s_cselect_b32 s20, s36, s60                                // 0000000084F8: 85143C24
	v_readlane_b32 s82, v3, 25                                 // 0000000084FC: D2890052 00013303
	s_and_b32 s82, s82, 0xffffff                               // 000000008504: 8652FF52 00FFFFFF
	s_cmp_lt_u32 s82, s66                                      // 00000000850C: BF0A4252
	s_cselect_b32 s21, s36, s60                                // 000000008510: 85153C24
	s_mov_b64 exec, s[20:21]                                   // 000000008514: BEFE0114
	global_atomic_add_f32 v6, v138, s[8:9] offset:8            // 000000008518: DD348008 00088A06
	s_mov_b64 exec, s[36:37]                                   // 000000008520: BEFE0124
	v_mov_b32_e32 v6, v75                                      // 000000008524: 7E0C034B
	s_mov_b64 s[60:61], 0                                      // 000000008528: BEBC0180
	v_readlane_b32 s82, v3, 26                                 // 00000000852C: D2890052 00013503
	s_and_b32 s82, s82, 0xffffff                               // 000000008534: 8652FF52 00FFFFFF
	s_cmp_lt_u32 s82, s66                                      // 00000000853C: BF0A4252
	s_cselect_b32 s20, s36, s60                                // 000000008540: 85143C24
	v_readlane_b32 s82, v3, 27                                 // 000000008544: D2890052 00013703
	s_and_b32 s82, s82, 0xffffff                               // 00000000854C: 8652FF52 00FFFFFF
	s_cmp_lt_u32 s82, s66                                      // 000000008554: BF0A4252
	s_cselect_b32 s21, s36, s60                                // 000000008558: 85153C24
	s_mov_b64 exec, s[20:21]                                   // 00000000855C: BEFE0114
	global_atomic_add_f32 v6, v139, s[8:9] offset:8            // 000000008560: DD348008 00088B06
	s_mov_b64 exec, s[36:37]                                   // 000000008568: BEFE0124
	v_mov_b32_e32 v6, v76                                      // 00000000856C: 7E0C034C
	s_mov_b64 s[60:61], 0                                      // 000000008570: BEBC0180
	v_readlane_b32 s82, v3, 28                                 // 000000008574: D2890052 00013903
	s_and_b32 s82, s82, 0xffffff                               // 00000000857C: 8652FF52 00FFFFFF
	s_cmp_lt_u32 s82, s66                                      // 000000008584: BF0A4252
	s_cselect_b32 s20, s36, s60                                // 000000008588: 85143C24
	v_readlane_b32 s82, v3, 29                                 // 00000000858C: D2890052 00013B03
	s_and_b32 s82, s82, 0xffffff                               // 000000008594: 8652FF52 00FFFFFF
	s_cmp_lt_u32 s82, s66                                      // 00000000859C: BF0A4252
	s_cselect_b32 s21, s36, s60                                // 0000000085A0: 85153C24
	s_mov_b64 exec, s[20:21]                                   // 0000000085A4: BEFE0114
	global_atomic_add_f32 v6, v142, s[8:9] offset:8            // 0000000085A8: DD348008 00088E06
	s_mov_b64 exec, s[36:37]                                   // 0000000085B0: BEFE0124
	v_mov_b32_e32 v6, v77                                      // 0000000085B4: 7E0C034D
	s_mov_b64 s[60:61], 0                                      // 0000000085B8: BEBC0180
	v_readlane_b32 s82, v3, 30                                 // 0000000085BC: D2890052 00013D03
	s_and_b32 s82, s82, 0xffffff                               // 0000000085C4: 8652FF52 00FFFFFF
	s_cmp_lt_u32 s82, s66                                      // 0000000085CC: BF0A4252
	s_cselect_b32 s20, s36, s60                                // 0000000085D0: 85143C24
	v_readlane_b32 s82, v3, 31                                 // 0000000085D4: D2890052 00013F03
	s_and_b32 s82, s82, 0xffffff                               // 0000000085DC: 8652FF52 00FFFFFF
	s_cmp_lt_u32 s82, s66                                      // 0000000085E4: BF0A4252
	s_cselect_b32 s21, s36, s60                                // 0000000085E8: 85153C24
	s_mov_b64 exec, s[20:21]                                   // 0000000085EC: BEFE0114
	global_atomic_add_f32 v6, v143, s[8:9] offset:8            // 0000000085F0: DD348008 00088F06
	s_mov_b64 exec, s[36:37]                                   // 0000000085F8: BEFE0124
	s_branch label_2A93                                        // 0000000085FC: BF821390

0000000000008600 <label_1703>:
	s_waitcnt vmcnt(18) lgkmcnt(0)                             // 000000008600: BF8C4072
	v_mfma_f32_16x16x32_fp8_fp8 v[80:83], a[128:129], a[0:1], v[80:83]// 000000008604: D3F30050 1D420180
	buffer_load_dwordx4 a[144:147], v78, s[24:27], 0 offen     // 00000000860C: E05C1000 8086904E
	v_mfma_f32_16x16x32_fp8_fp8 v[80:83], a[130:131], a[2:3], v[80:83]// 000000008614: D3F30050 1D420582
	v_mfma_f32_16x16x32_fp8_fp8 v[80:83], a[132:133], a[4:5], v[80:83]// 00000000861C: D3F30050 1D420984
	v_mfma_f32_16x16x32_fp8_fp8 v[80:83], a[134:135], a[6:7], v[80:83]// 000000008624: D3F30050 1D420D86
	v_mfma_f32_16x16x32_fp8_fp8 v[84:87], a[128:129], a[8:9], v[84:87]// 00000000862C: D3F30054 1D521180
	buffer_load_dwordx4 a[148:151], v78, s[24:27], 0 offen offset:1024// 000000008634: E05C1400 8086944E
	buffer_load_dword v62, s[20:23], 0 offen lds               // 00000000863C: E0511000 8005003E
	s_add_u32 m0, 0x100, s50                                   // 000000008644: 807C32FF 00000100
	v_mfma_f32_16x16x32_fp8_fp8 v[84:87], a[130:131], a[10:11], v[84:87]// 00000000864C: D3F30054 1D521582
	v_mfma_f32_16x16x32_fp8_fp8 v[84:87], a[132:133], a[12:13], v[84:87]// 000000008654: D3F30054 1D521984
	buffer_load_dword v63, s[20:23], 0 offen lds               // 00000000865C: E0511000 8005003F
	s_add_u32 m0, 0x200, s50                                   // 000000008664: 807C32FF 00000200
	v_mfma_f32_16x16x32_fp8_fp8 v[84:87], a[134:135], a[14:15], v[84:87]// 00000000866C: D3F30054 1D521D86
	v_mfma_f32_16x16x32_fp8_fp8 v[88:91], a[128:129], a[16:17], v[88:91]// 000000008674: D3F30058 1D622180
	buffer_load_dword v64, s[20:23], 0 offen lds               // 00000000867C: E0511000 80050040
	s_add_u32 m0, 0x300, s50                                   // 000000008684: 807C32FF 00000300
	v_mfma_f32_16x16x32_fp8_fp8 v[88:91], a[130:131], a[18:19], v[88:91]// 00000000868C: D3F30058 1D622582
	v_mfma_f32_16x16x32_fp8_fp8 v[88:91], a[132:133], a[20:21], v[88:91]// 000000008694: D3F30058 1D622984
	buffer_load_dword v65, s[20:23], 0 offen lds               // 00000000869C: E0511000 80050041
	s_add_u32 m0, 0x400, s50                                   // 0000000086A4: 807C32FF 00000400
	v_mfma_f32_16x16x32_fp8_fp8 v[88:91], a[134:135], a[22:23], v[88:91]// 0000000086AC: D3F30058 1D622D86
	v_mfma_f32_16x16x32_fp8_fp8 v[92:95], a[128:129], a[24:25], v[92:95]// 0000000086B4: D3F3005C 1D723180
	buffer_load_dword v66, s[20:23], 0 offen lds               // 0000000086BC: E0511000 80050042
	s_add_u32 m0, 0x500, s50                                   // 0000000086C4: 807C32FF 00000500
	v_mfma_f32_16x16x32_fp8_fp8 v[92:95], a[130:131], a[26:27], v[92:95]// 0000000086CC: D3F3005C 1D723582
	v_mfma_f32_16x16x32_fp8_fp8 v[92:95], a[132:133], a[28:29], v[92:95]// 0000000086D4: D3F3005C 1D723984
	buffer_load_dword v67, s[20:23], 0 offen lds               // 0000000086DC: E0511000 80050043
	s_add_u32 m0, 0x600, s50                                   // 0000000086E4: 807C32FF 00000600
	v_mfma_f32_16x16x32_fp8_fp8 v[92:95], a[134:135], a[30:31], v[92:95]// 0000000086EC: D3F3005C 1D723D86
	v_mfma_f32_16x16x32_fp8_fp8 v[96:99], a[128:129], a[32:33], v[96:99]// 0000000086F4: D3F30060 1D824180
	v_mfma_f32_16x16x32_fp8_fp8 v[96:99], a[130:131], a[34:35], v[96:99]// 0000000086FC: D3F30060 1D824582
	v_mfma_f32_16x16x32_fp8_fp8 v[96:99], a[132:133], a[36:37], v[96:99]// 000000008704: D3F30060 1D824984
	v_mfma_f32_16x16x32_fp8_fp8 v[96:99], a[134:135], a[38:39], v[96:99]// 00000000870C: D3F30060 1D824D86
	v_mfma_f32_16x16x32_fp8_fp8 v[100:103], a[128:129], a[40:41], v[100:103]// 000000008714: D3F30064 1D925180
	buffer_load_dword v68, s[20:23], 0 offen lds               // 00000000871C: E0511000 80050044
	s_add_u32 m0, 0x700, s50                                   // 000000008724: 807C32FF 00000700
	v_mfma_f32_16x16x32_fp8_fp8 v[100:103], a[130:131], a[42:43], v[100:103]// 00000000872C: D3F30064 1D925582
	v_mfma_f32_16x16x32_fp8_fp8 v[100:103], a[132:133], a[44:45], v[100:103]// 000000008734: D3F30064 1D925984
	buffer_load_dword v69, s[20:23], 0 offen lds               // 00000000873C: E0511000 80050045
	s_add_u32 m0, 0x800, s50                                   // 000000008744: 807C32FF 00000800
	v_mfma_f32_16x16x32_fp8_fp8 v[100:103], a[134:135], a[46:47], v[100:103]// 00000000874C: D3F30064 1D925D86
	v_mfma_f32_16x16x32_fp8_fp8 v[104:107], a[128:129], a[48:49], v[104:107]// 000000008754: D3F30068 1DA26180
	v_mfma_f32_16x16x32_fp8_fp8 v[104:107], a[130:131], a[50:51], v[104:107]// 00000000875C: D3F30068 1DA26582
	v_mfma_f32_16x16x32_fp8_fp8 v[104:107], a[132:133], a[52:53], v[104:107]// 000000008764: D3F30068 1DA26984
	v_mfma_f32_16x16x32_fp8_fp8 v[104:107], a[134:135], a[54:55], v[104:107]// 00000000876C: D3F30068 1DA26D86
	v_mfma_f32_16x16x32_fp8_fp8 v[108:111], a[128:129], a[56:57], v[108:111]// 000000008774: D3F3006C 1DB27180
	buffer_load_dword v70, s[20:23], 0 offen lds               // 00000000877C: E0511000 80050046
	s_add_u32 m0, 0x900, s50                                   // 000000008784: 807C32FF 00000900
	v_mfma_f32_16x16x32_fp8_fp8 v[108:111], a[130:131], a[58:59], v[108:111]// 00000000878C: D3F3006C 1DB27582
	v_mfma_f32_16x16x32_fp8_fp8 v[108:111], a[132:133], a[60:61], v[108:111]// 000000008794: D3F3006C 1DB27984
	buffer_load_dword v71, s[20:23], 0 offen lds               // 00000000879C: E0511000 80050047
	s_add_u32 m0, 0xa00, s50                                   // 0000000087A4: 807C32FF 00000A00
	v_mfma_f32_16x16x32_fp8_fp8 v[108:111], a[134:135], a[62:63], v[108:111]// 0000000087AC: D3F3006C 1DB27D86
	buffer_load_dword v72, s[20:23], 0 offen lds               // 0000000087B4: E0511000 80050048
	s_add_u32 m0, 0xb00, s50                                   // 0000000087BC: 807C32FF 00000B00
	buffer_load_dword v73, s[20:23], 0 offen lds               // 0000000087C4: E0511000 80050049
	s_add_u32 m0, 0xc00, s50                                   // 0000000087CC: 807C32FF 00000C00
	buffer_load_dword v74, s[20:23], 0 offen lds               // 0000000087D4: E0511000 8005004A
	s_add_u32 m0, 0xd00, s50                                   // 0000000087DC: 807C32FF 00000D00
	buffer_load_dword v75, s[20:23], 0 offen lds               // 0000000087E4: E0511000 8005004B
	s_add_u32 m0, 0xe00, s50                                   // 0000000087EC: 807C32FF 00000E00
	buffer_load_dword v76, s[20:23], 0 offen lds               // 0000000087F4: E0511000 8005004C
	s_add_u32 m0, 0xf00, s50                                   // 0000000087FC: 807C32FF 00000F00
	buffer_load_dword v77, s[20:23], 0 offen lds               // 000000008804: E0511000 8005004D
	s_add_u32 m0, 0, s48                                       // 00000000880C: 807C3080
	s_waitcnt vmcnt(18)                                        // 000000008810: BF8C4F72
	s_barrier                                                  // 000000008814: BF8A0000
	v_mfma_f32_16x16x32_fp8_fp8 v[112:115], a[136:137], a[0:1], v[112:115]// 000000008818: D3F30070 1DC20188
	buffer_load_dwordx4 a[128:131], v78, s[84:87], 0 offen     // 000000008820: E05C1000 8095804E
	v_mfma_f32_16x16x32_fp8_fp8 v[112:115], a[138:139], a[2:3], v[112:115]// 000000008828: D3F30070 1DC2058A
	v_mfma_f32_16x16x32_fp8_fp8 v[112:115], a[140:141], a[4:5], v[112:115]// 000000008830: D3F30070 1DC2098C
	ds_read_b128 a[64:67], v2 offset:16512                     // 000000008838: DBFE4080 40000002
	ds_read_b128 a[68:71], v2 offset:16576                     // 000000008840: DBFE40C0 44000002
	v_mfma_f32_16x16x32_fp8_fp8 v[112:115], a[142:143], a[6:7], v[112:115]// 000000008848: D3F30070 1DC20D8E
	v_mfma_f32_16x16x32_fp8_fp8 v[116:119], a[136:137], a[8:9], v[116:119]// 000000008850: D3F30074 1DD21188
	buffer_load_dwordx4 a[132:135], v78, s[84:87], 0 offen offset:1024// 000000008858: E05C1400 8095844E
	v_mfma_f32_16x16x32_fp8_fp8 v[116:119], a[138:139], a[10:11], v[116:119]// 000000008860: D3F30074 1DD2158A
	v_mfma_f32_16x16x32_fp8_fp8 v[116:119], a[140:141], a[12:13], v[116:119]// 000000008868: D3F30074 1DD2198C
	ds_read_b128 a[72:75], v2 offset:17024                     // 000000008870: DBFE4280 48000002
	ds_read_b128 a[76:79], v2 offset:17088                     // 000000008878: DBFE42C0 4C000002
	v_mfma_f32_16x16x32_fp8_fp8 v[116:119], a[142:143], a[14:15], v[116:119]// 000000008880: D3F30074 1DD21D8E
	v_mfma_f32_16x16x32_fp8_fp8 v[120:123], a[136:137], a[16:17], v[120:123]// 000000008888: D3F30078 1DE22188
	v_mfma_f32_16x16x32_fp8_fp8 v[120:123], a[138:139], a[18:19], v[120:123]// 000000008890: D3F30078 1DE2258A
	v_mfma_f32_16x16x32_fp8_fp8 v[120:123], a[140:141], a[20:21], v[120:123]// 000000008898: D3F30078 1DE2298C
	ds_read_b128 a[80:83], v2 offset:17536                     // 0000000088A0: DBFE4480 50000002
	ds_read_b128 a[84:87], v2 offset:17600                     // 0000000088A8: DBFE44C0 54000002
	v_mfma_f32_16x16x32_fp8_fp8 v[120:123], a[142:143], a[22:23], v[120:123]// 0000000088B0: D3F30078 1DE22D8E
	v_mfma_f32_16x16x32_fp8_fp8 v[124:127], a[136:137], a[24:25], v[124:127]// 0000000088B8: D3F3007C 1DF23188
	v_mfma_f32_16x16x32_fp8_fp8 v[124:127], a[138:139], a[26:27], v[124:127]// 0000000088C0: D3F3007C 1DF2358A
	v_mfma_f32_16x16x32_fp8_fp8 v[124:127], a[140:141], a[28:29], v[124:127]// 0000000088C8: D3F3007C 1DF2398C
	ds_read_b128 a[88:91], v2 offset:18048                     // 0000000088D0: DBFE4680 58000002
	ds_read_b128 a[92:95], v2 offset:18112                     // 0000000088D8: DBFE46C0 5C000002
	v_mfma_f32_16x16x32_fp8_fp8 v[124:127], a[142:143], a[30:31], v[124:127]// 0000000088E0: D3F3007C 1DF23D8E
	v_mfma_f32_16x16x32_fp8_fp8 v[128:131], a[136:137], a[32:33], v[128:131]// 0000000088E8: D3F30080 1E024188
	v_mfma_f32_16x16x32_fp8_fp8 v[128:131], a[138:139], a[34:35], v[128:131]// 0000000088F0: D3F30080 1E02458A
	v_mfma_f32_16x16x32_fp8_fp8 v[128:131], a[140:141], a[36:37], v[128:131]// 0000000088F8: D3F30080 1E02498C
	ds_read_b128 a[96:99], v2 offset:18560                     // 000000008900: DBFE4880 60000002
	ds_read_b128 a[100:103], v2 offset:18624                   // 000000008908: DBFE48C0 64000002
	v_mfma_f32_16x16x32_fp8_fp8 v[128:131], a[142:143], a[38:39], v[128:131]// 000000008910: D3F30080 1E024D8E
	v_mfma_f32_16x16x32_fp8_fp8 v[132:135], a[136:137], a[40:41], v[132:135]// 000000008918: D3F30084 1E125188
	v_mfma_f32_16x16x32_fp8_fp8 v[132:135], a[138:139], a[42:43], v[132:135]// 000000008920: D3F30084 1E12558A
	v_mfma_f32_16x16x32_fp8_fp8 v[132:135], a[140:141], a[44:45], v[132:135]// 000000008928: D3F30084 1E12598C
	ds_read_b128 a[104:107], v2 offset:19072                   // 000000008930: DBFE4A80 68000002
	ds_read_b128 a[108:111], v2 offset:19136                   // 000000008938: DBFE4AC0 6C000002
	v_mfma_f32_16x16x32_fp8_fp8 v[132:135], a[142:143], a[46:47], v[132:135]// 000000008940: D3F30084 1E125D8E
	v_mfma_f32_16x16x32_fp8_fp8 v[136:139], a[136:137], a[48:49], v[136:139]// 000000008948: D3F30088 1E226188
	s_add_u32 s60, 0x180, s80                                  // 000000008950: 803C50FF 00000180
	s_cmp_lt_u32 s60, s81                                      // 000000008958: BF0A513C
	s_cselect_b32 s57, s57, 0                                  // 00000000895C: 85398039
	v_mfma_f32_16x16x32_fp8_fp8 v[136:139], a[138:139], a[50:51], v[136:139]// 000000008960: D3F30088 1E22658A
	s_add_u32 s60, 0x100, s80                                  // 000000008968: 803C50FF 00000100
	s_cmp_lt_u32 s60, s81                                      // 000000008970: BF0A513C
	s_cselect_b32 s58, s58, 0                                  // 000000008974: 853A803A
	v_mfma_f32_16x16x32_fp8_fp8 v[136:139], a[140:141], a[52:53], v[136:139]// 000000008978: D3F30088 1E22698C
	ds_read_b128 a[112:115], v2 offset:19584                   // 000000008980: DBFE4C80 70000002
	ds_read_b128 a[116:119], v2 offset:19648                   // 000000008988: DBFE4CC0 74000002
	s_add_u32 s60, 0x100, s80                                  // 000000008990: 803C50FF 00000100
	s_cmp_lt_u32 s60, s81                                      // 000000008998: BF0A513C
	s_cselect_b32 s83, s83, 0                                  // 00000000899C: 85538053
	v_mfma_f32_16x16x32_fp8_fp8 v[136:139], a[142:143], a[54:55], v[136:139]// 0000000089A0: D3F30088 1E226D8E
	s_add_u32 s24, s58, s24                                    // 0000000089A8: 8018183A
	s_addc_u32 s25, 0, s25                                     // 0000000089AC: 82191980
	v_mfma_f32_16x16x32_fp8_fp8 v[140:143], a[136:137], a[56:57], v[140:143]// 0000000089B0: D3F3008C 1E327188
	s_add_u32 s20, s57, s20                                    // 0000000089B8: 80141439
	s_addc_u32 s21, 0, s21                                     // 0000000089BC: 82151580
	v_mfma_f32_16x16x32_fp8_fp8 v[140:143], a[138:139], a[58:59], v[140:143]// 0000000089C0: D3F3008C 1E32758A
	s_add_u32 s84, s83, s84                                    // 0000000089C8: 80545453
	s_addc_u32 s85, 0, s85                                     // 0000000089CC: 82555580
	v_mfma_f32_16x16x32_fp8_fp8 v[140:143], a[140:141], a[60:61], v[140:143]// 0000000089D0: D3F3008C 1E32798C
	ds_read_b128 a[120:123], v2 offset:20096                   // 0000000089D8: DBFE4E80 78000002
	ds_read_b128 a[124:127], v2 offset:20160                   // 0000000089E0: DBFE4EC0 7C000002
	v_mfma_f32_16x16x32_fp8_fp8 v[140:143], a[142:143], a[62:63], v[140:143]// 0000000089E8: D3F3008C 1E327D8E
	s_addk_i32 s80, 0x80                                       // 0000000089F0: B7500080
	s_cmp_lt_i32 s80, s81                                      // 0000000089F4: BF045150
	s_cbranch_scc0 label_1CFE                                  // 0000000089F8: BF8404FC
	s_waitcnt vmcnt(18) lgkmcnt(0)                             // 0000000089FC: BF8C4072
	v_mfma_f32_16x16x32_fp8_fp8 v[80:83], a[144:145], a[64:65], v[80:83]// 000000008A00: D3F30050 1D428190
	buffer_load_dwordx4 a[136:139], v78, s[24:27], 0 offen     // 000000008A08: E05C1000 8086884E
	v_mfma_f32_16x16x32_fp8_fp8 v[80:83], a[146:147], a[66:67], v[80:83]// 000000008A10: D3F30050 1D428592
	v_mfma_f32_16x16x32_fp8_fp8 v[80:83], a[148:149], a[68:69], v[80:83]// 000000008A18: D3F30050 1D428994
	v_mfma_f32_16x16x32_fp8_fp8 v[80:83], a[150:151], a[70:71], v[80:83]// 000000008A20: D3F30050 1D428D96
	v_mfma_f32_16x16x32_fp8_fp8 v[84:87], a[144:145], a[72:73], v[84:87]// 000000008A28: D3F30054 1D529190
	buffer_load_dwordx4 a[140:143], v78, s[24:27], 0 offen offset:1024// 000000008A30: E05C1400 80868C4E
	buffer_load_dword v62, s[20:23], 0 offen lds               // 000000008A38: E0511000 8005003E
	s_add_u32 m0, 0x100, s48                                   // 000000008A40: 807C30FF 00000100
	v_mfma_f32_16x16x32_fp8_fp8 v[84:87], a[146:147], a[74:75], v[84:87]// 000000008A48: D3F30054 1D529592
	v_mfma_f32_16x16x32_fp8_fp8 v[84:87], a[148:149], a[76:77], v[84:87]// 000000008A50: D3F30054 1D529994
	buffer_load_dword v63, s[20:23], 0 offen lds               // 000000008A58: E0511000 8005003F
	s_add_u32 m0, 0x200, s48                                   // 000000008A60: 807C30FF 00000200
	v_mfma_f32_16x16x32_fp8_fp8 v[84:87], a[150:151], a[78:79], v[84:87]// 000000008A68: D3F30054 1D529D96
	v_mfma_f32_16x16x32_fp8_fp8 v[88:91], a[144:145], a[80:81], v[88:91]// 000000008A70: D3F30058 1D62A190
	buffer_load_dword v64, s[20:23], 0 offen lds               // 000000008A78: E0511000 80050040
	s_add_u32 m0, 0x300, s48                                   // 000000008A80: 807C30FF 00000300
	v_mfma_f32_16x16x32_fp8_fp8 v[88:91], a[146:147], a[82:83], v[88:91]// 000000008A88: D3F30058 1D62A592
	v_mfma_f32_16x16x32_fp8_fp8 v[88:91], a[148:149], a[84:85], v[88:91]// 000000008A90: D3F30058 1D62A994
	buffer_load_dword v65, s[20:23], 0 offen lds               // 000000008A98: E0511000 80050041
	s_add_u32 m0, 0x400, s48                                   // 000000008AA0: 807C30FF 00000400
	v_mfma_f32_16x16x32_fp8_fp8 v[88:91], a[150:151], a[86:87], v[88:91]// 000000008AA8: D3F30058 1D62AD96
	v_mfma_f32_16x16x32_fp8_fp8 v[92:95], a[144:145], a[88:89], v[92:95]// 000000008AB0: D3F3005C 1D72B190
	buffer_load_dword v66, s[20:23], 0 offen lds               // 000000008AB8: E0511000 80050042
	s_add_u32 m0, 0x500, s48                                   // 000000008AC0: 807C30FF 00000500
	v_mfma_f32_16x16x32_fp8_fp8 v[92:95], a[146:147], a[90:91], v[92:95]// 000000008AC8: D3F3005C 1D72B592
	v_mfma_f32_16x16x32_fp8_fp8 v[92:95], a[148:149], a[92:93], v[92:95]// 000000008AD0: D3F3005C 1D72B994
	buffer_load_dword v67, s[20:23], 0 offen lds               // 000000008AD8: E0511000 80050043
	s_add_u32 m0, 0x600, s48                                   // 000000008AE0: 807C30FF 00000600
	v_mfma_f32_16x16x32_fp8_fp8 v[92:95], a[150:151], a[94:95], v[92:95]// 000000008AE8: D3F3005C 1D72BD96
	v_mfma_f32_16x16x32_fp8_fp8 v[96:99], a[144:145], a[96:97], v[96:99]// 000000008AF0: D3F30060 1D82C190
	v_mfma_f32_16x16x32_fp8_fp8 v[96:99], a[146:147], a[98:99], v[96:99]// 000000008AF8: D3F30060 1D82C592
	v_mfma_f32_16x16x32_fp8_fp8 v[96:99], a[148:149], a[100:101], v[96:99]// 000000008B00: D3F30060 1D82C994
	v_mfma_f32_16x16x32_fp8_fp8 v[96:99], a[150:151], a[102:103], v[96:99]// 000000008B08: D3F30060 1D82CD96
	v_mfma_f32_16x16x32_fp8_fp8 v[100:103], a[144:145], a[104:105], v[100:103]// 000000008B10: D3F30064 1D92D190
	buffer_load_dword v68, s[20:23], 0 offen lds               // 000000008B18: E0511000 80050044
	s_add_u32 m0, 0x700, s48                                   // 000000008B20: 807C30FF 00000700
	v_mfma_f32_16x16x32_fp8_fp8 v[100:103], a[146:147], a[106:107], v[100:103]// 000000008B28: D3F30064 1D92D592
	v_mfma_f32_16x16x32_fp8_fp8 v[100:103], a[148:149], a[108:109], v[100:103]// 000000008B30: D3F30064 1D92D994
	buffer_load_dword v69, s[20:23], 0 offen lds               // 000000008B38: E0511000 80050045
	s_add_u32 m0, 0x800, s48                                   // 000000008B40: 807C30FF 00000800
	v_mfma_f32_16x16x32_fp8_fp8 v[100:103], a[150:151], a[110:111], v[100:103]// 000000008B48: D3F30064 1D92DD96
	v_mfma_f32_16x16x32_fp8_fp8 v[104:107], a[144:145], a[112:113], v[104:107]// 000000008B50: D3F30068 1DA2E190
	v_mfma_f32_16x16x32_fp8_fp8 v[104:107], a[146:147], a[114:115], v[104:107]// 000000008B58: D3F30068 1DA2E592
	v_mfma_f32_16x16x32_fp8_fp8 v[104:107], a[148:149], a[116:117], v[104:107]// 000000008B60: D3F30068 1DA2E994
	v_mfma_f32_16x16x32_fp8_fp8 v[104:107], a[150:151], a[118:119], v[104:107]// 000000008B68: D3F30068 1DA2ED96
	v_mfma_f32_16x16x32_fp8_fp8 v[108:111], a[144:145], a[120:121], v[108:111]// 000000008B70: D3F3006C 1DB2F190
	buffer_load_dword v70, s[20:23], 0 offen lds               // 000000008B78: E0511000 80050046
	s_add_u32 m0, 0x900, s48                                   // 000000008B80: 807C30FF 00000900
	v_mfma_f32_16x16x32_fp8_fp8 v[108:111], a[146:147], a[122:123], v[108:111]// 000000008B88: D3F3006C 1DB2F592
	v_mfma_f32_16x16x32_fp8_fp8 v[108:111], a[148:149], a[124:125], v[108:111]// 000000008B90: D3F3006C 1DB2F994
	buffer_load_dword v71, s[20:23], 0 offen lds               // 000000008B98: E0511000 80050047
	s_add_u32 m0, 0xa00, s48                                   // 000000008BA0: 807C30FF 00000A00
	v_mfma_f32_16x16x32_fp8_fp8 v[108:111], a[150:151], a[126:127], v[108:111]// 000000008BA8: D3F3006C 1DB2FD96
	buffer_load_dword v72, s[20:23], 0 offen lds               // 000000008BB0: E0511000 80050048
	s_add_u32 m0, 0xb00, s48                                   // 000000008BB8: 807C30FF 00000B00
	buffer_load_dword v73, s[20:23], 0 offen lds               // 000000008BC0: E0511000 80050049
	s_add_u32 m0, 0xc00, s48                                   // 000000008BC8: 807C30FF 00000C00
	buffer_load_dword v74, s[20:23], 0 offen lds               // 000000008BD0: E0511000 8005004A
	s_add_u32 m0, 0xd00, s48                                   // 000000008BD8: 807C30FF 00000D00
	buffer_load_dword v75, s[20:23], 0 offen lds               // 000000008BE0: E0511000 8005004B
	s_add_u32 m0, 0xe00, s48                                   // 000000008BE8: 807C30FF 00000E00
	buffer_load_dword v76, s[20:23], 0 offen lds               // 000000008BF0: E0511000 8005004C
	s_add_u32 m0, 0xf00, s48                                   // 000000008BF8: 807C30FF 00000F00
	buffer_load_dword v77, s[20:23], 0 offen lds               // 000000008C00: E0511000 8005004D
	s_add_u32 m0, 0, s49                                       // 000000008C08: 807C3180
	s_waitcnt vmcnt(18)                                        // 000000008C0C: BF8C4F72
	s_barrier                                                  // 000000008C10: BF8A0000
	v_mfma_f32_16x16x32_fp8_fp8 v[112:115], a[128:129], a[64:65], v[112:115]// 000000008C14: D3F30070 1DC28180
	buffer_load_dwordx4 a[144:147], v78, s[84:87], 0 offen     // 000000008C1C: E05C1000 8095904E
	v_mfma_f32_16x16x32_fp8_fp8 v[112:115], a[130:131], a[66:67], v[112:115]// 000000008C24: D3F30070 1DC28582
	v_mfma_f32_16x16x32_fp8_fp8 v[112:115], a[132:133], a[68:69], v[112:115]// 000000008C2C: D3F30070 1DC28984
	ds_read_b128 a[0:3], v2 offset:33024                       // 000000008C34: DBFE8100 00000002
	ds_read_b128 a[4:7], v2 offset:33088                       // 000000008C3C: DBFE8140 04000002
	v_mfma_f32_16x16x32_fp8_fp8 v[112:115], a[134:135], a[70:71], v[112:115]// 000000008C44: D3F30070 1DC28D86
	v_mfma_f32_16x16x32_fp8_fp8 v[116:119], a[128:129], a[72:73], v[116:119]// 000000008C4C: D3F30074 1DD29180
	buffer_load_dwordx4 a[148:151], v78, s[84:87], 0 offen offset:1024// 000000008C54: E05C1400 8095944E
	v_mfma_f32_16x16x32_fp8_fp8 v[116:119], a[130:131], a[74:75], v[116:119]// 000000008C5C: D3F30074 1DD29582
	v_mfma_f32_16x16x32_fp8_fp8 v[116:119], a[132:133], a[76:77], v[116:119]// 000000008C64: D3F30074 1DD29984
	ds_read_b128 a[8:11], v2 offset:33536                      // 000000008C6C: DBFE8300 08000002
	ds_read_b128 a[12:15], v2 offset:33600                     // 000000008C74: DBFE8340 0C000002
	v_mfma_f32_16x16x32_fp8_fp8 v[116:119], a[134:135], a[78:79], v[116:119]// 000000008C7C: D3F30074 1DD29D86
	v_mfma_f32_16x16x32_fp8_fp8 v[120:123], a[128:129], a[80:81], v[120:123]// 000000008C84: D3F30078 1DE2A180
	v_mfma_f32_16x16x32_fp8_fp8 v[120:123], a[130:131], a[82:83], v[120:123]// 000000008C8C: D3F30078 1DE2A582
	v_mfma_f32_16x16x32_fp8_fp8 v[120:123], a[132:133], a[84:85], v[120:123]// 000000008C94: D3F30078 1DE2A984
	ds_read_b128 a[16:19], v2 offset:34048                     // 000000008C9C: DBFE8500 10000002
	ds_read_b128 a[20:23], v2 offset:34112                     // 000000008CA4: DBFE8540 14000002
	v_mfma_f32_16x16x32_fp8_fp8 v[120:123], a[134:135], a[86:87], v[120:123]// 000000008CAC: D3F30078 1DE2AD86
	v_mfma_f32_16x16x32_fp8_fp8 v[124:127], a[128:129], a[88:89], v[124:127]// 000000008CB4: D3F3007C 1DF2B180
	v_mfma_f32_16x16x32_fp8_fp8 v[124:127], a[130:131], a[90:91], v[124:127]// 000000008CBC: D3F3007C 1DF2B582
	v_mfma_f32_16x16x32_fp8_fp8 v[124:127], a[132:133], a[92:93], v[124:127]// 000000008CC4: D3F3007C 1DF2B984
	ds_read_b128 a[24:27], v2 offset:34560                     // 000000008CCC: DBFE8700 18000002
	ds_read_b128 a[28:31], v2 offset:34624                     // 000000008CD4: DBFE8740 1C000002
	v_mfma_f32_16x16x32_fp8_fp8 v[124:127], a[134:135], a[94:95], v[124:127]// 000000008CDC: D3F3007C 1DF2BD86
	v_mfma_f32_16x16x32_fp8_fp8 v[128:131], a[128:129], a[96:97], v[128:131]// 000000008CE4: D3F30080 1E02C180
	v_mfma_f32_16x16x32_fp8_fp8 v[128:131], a[130:131], a[98:99], v[128:131]// 000000008CEC: D3F30080 1E02C582
	v_mfma_f32_16x16x32_fp8_fp8 v[128:131], a[132:133], a[100:101], v[128:131]// 000000008CF4: D3F30080 1E02C984
	ds_read_b128 a[32:35], v2 offset:35072                     // 000000008CFC: DBFE8900 20000002
	ds_read_b128 a[36:39], v2 offset:35136                     // 000000008D04: DBFE8940 24000002
	v_mfma_f32_16x16x32_fp8_fp8 v[128:131], a[134:135], a[102:103], v[128:131]// 000000008D0C: D3F30080 1E02CD86
	v_mfma_f32_16x16x32_fp8_fp8 v[132:135], a[128:129], a[104:105], v[132:135]// 000000008D14: D3F30084 1E12D180
	v_mfma_f32_16x16x32_fp8_fp8 v[132:135], a[130:131], a[106:107], v[132:135]// 000000008D1C: D3F30084 1E12D582
	v_mfma_f32_16x16x32_fp8_fp8 v[132:135], a[132:133], a[108:109], v[132:135]// 000000008D24: D3F30084 1E12D984
	ds_read_b128 a[40:43], v2 offset:35584                     // 000000008D2C: DBFE8B00 28000002
	ds_read_b128 a[44:47], v2 offset:35648                     // 000000008D34: DBFE8B40 2C000002
	v_mfma_f32_16x16x32_fp8_fp8 v[132:135], a[134:135], a[110:111], v[132:135]// 000000008D3C: D3F30084 1E12DD86
	v_mfma_f32_16x16x32_fp8_fp8 v[136:139], a[128:129], a[112:113], v[136:139]// 000000008D44: D3F30088 1E22E180
	s_add_u32 s60, 0x180, s80                                  // 000000008D4C: 803C50FF 00000180
	s_cmp_lt_u32 s60, s81                                      // 000000008D54: BF0A513C
	s_cselect_b32 s57, s57, 0                                  // 000000008D58: 85398039
	v_mfma_f32_16x16x32_fp8_fp8 v[136:139], a[130:131], a[114:115], v[136:139]// 000000008D5C: D3F30088 1E22E582
	s_add_u32 s60, 0x100, s80                                  // 000000008D64: 803C50FF 00000100
	s_cmp_lt_u32 s60, s81                                      // 000000008D6C: BF0A513C
	s_cselect_b32 s58, s58, 0                                  // 000000008D70: 853A803A
	v_mfma_f32_16x16x32_fp8_fp8 v[136:139], a[132:133], a[116:117], v[136:139]// 000000008D74: D3F30088 1E22E984
	ds_read_b128 a[48:51], v2 offset:36096                     // 000000008D7C: DBFE8D00 30000002
	ds_read_b128 a[52:55], v2 offset:36160                     // 000000008D84: DBFE8D40 34000002
	s_add_u32 s60, 0x100, s80                                  // 000000008D8C: 803C50FF 00000100
	s_cmp_lt_u32 s60, s81                                      // 000000008D94: BF0A513C
	s_cselect_b32 s83, s83, 0                                  // 000000008D98: 85538053
	v_mfma_f32_16x16x32_fp8_fp8 v[136:139], a[134:135], a[118:119], v[136:139]// 000000008D9C: D3F30088 1E22ED86
	s_add_u32 s24, s58, s24                                    // 000000008DA4: 8018183A
	s_addc_u32 s25, 0, s25                                     // 000000008DA8: 82191980
	v_mfma_f32_16x16x32_fp8_fp8 v[140:143], a[128:129], a[120:121], v[140:143]// 000000008DAC: D3F3008C 1E32F180
	s_add_u32 s20, s57, s20                                    // 000000008DB4: 80141439
	s_addc_u32 s21, 0, s21                                     // 000000008DB8: 82151580
	v_mfma_f32_16x16x32_fp8_fp8 v[140:143], a[130:131], a[122:123], v[140:143]// 000000008DBC: D3F3008C 1E32F582
	s_add_u32 s84, s83, s84                                    // 000000008DC4: 80545453
	s_addc_u32 s85, 0, s85                                     // 000000008DC8: 82555580
	v_mfma_f32_16x16x32_fp8_fp8 v[140:143], a[132:133], a[124:125], v[140:143]// 000000008DCC: D3F3008C 1E32F984
	ds_read_b128 a[56:59], v2 offset:36608                     // 000000008DD4: DBFE8F00 38000002
	ds_read_b128 a[60:63], v2 offset:36672                     // 000000008DDC: DBFE8F40 3C000002
	v_mfma_f32_16x16x32_fp8_fp8 v[140:143], a[134:135], a[126:127], v[140:143]// 000000008DE4: D3F3008C 1E32FD86
	s_addk_i32 s80, 0x80                                       // 000000008DEC: B7500080
	s_cmp_lt_i32 s80, s81                                      // 000000008DF0: BF045150
	s_cbranch_scc0 label_1CFE                                  // 000000008DF4: BF8403FD
	s_waitcnt vmcnt(18) lgkmcnt(0)                             // 000000008DF8: BF8C4072
	v_mfma_f32_16x16x32_fp8_fp8 v[80:83], a[136:137], a[0:1], v[80:83]// 000000008DFC: D3F30050 1D420188
	buffer_load_dwordx4 a[128:131], v78, s[24:27], 0 offen     // 000000008E04: E05C1000 8086804E
	v_mfma_f32_16x16x32_fp8_fp8 v[80:83], a[138:139], a[2:3], v[80:83]// 000000008E0C: D3F30050 1D42058A
	v_mfma_f32_16x16x32_fp8_fp8 v[80:83], a[140:141], a[4:5], v[80:83]// 000000008E14: D3F30050 1D42098C
	v_mfma_f32_16x16x32_fp8_fp8 v[80:83], a[142:143], a[6:7], v[80:83]// 000000008E1C: D3F30050 1D420D8E
	v_mfma_f32_16x16x32_fp8_fp8 v[84:87], a[136:137], a[8:9], v[84:87]// 000000008E24: D3F30054 1D521188
	buffer_load_dwordx4 a[132:135], v78, s[24:27], 0 offen offset:1024// 000000008E2C: E05C1400 8086844E
	buffer_load_dword v62, s[20:23], 0 offen lds               // 000000008E34: E0511000 8005003E
	s_add_u32 m0, 0x100, s49                                   // 000000008E3C: 807C31FF 00000100
	v_mfma_f32_16x16x32_fp8_fp8 v[84:87], a[138:139], a[10:11], v[84:87]// 000000008E44: D3F30054 1D52158A
	v_mfma_f32_16x16x32_fp8_fp8 v[84:87], a[140:141], a[12:13], v[84:87]// 000000008E4C: D3F30054 1D52198C
	buffer_load_dword v63, s[20:23], 0 offen lds               // 000000008E54: E0511000 8005003F
	s_add_u32 m0, 0x200, s49                                   // 000000008E5C: 807C31FF 00000200
	v_mfma_f32_16x16x32_fp8_fp8 v[84:87], a[142:143], a[14:15], v[84:87]// 000000008E64: D3F30054 1D521D8E
	v_mfma_f32_16x16x32_fp8_fp8 v[88:91], a[136:137], a[16:17], v[88:91]// 000000008E6C: D3F30058 1D622188
	buffer_load_dword v64, s[20:23], 0 offen lds               // 000000008E74: E0511000 80050040
	s_add_u32 m0, 0x300, s49                                   // 000000008E7C: 807C31FF 00000300
	v_mfma_f32_16x16x32_fp8_fp8 v[88:91], a[138:139], a[18:19], v[88:91]// 000000008E84: D3F30058 1D62258A
	v_mfma_f32_16x16x32_fp8_fp8 v[88:91], a[140:141], a[20:21], v[88:91]// 000000008E8C: D3F30058 1D62298C
	buffer_load_dword v65, s[20:23], 0 offen lds               // 000000008E94: E0511000 80050041
	s_add_u32 m0, 0x400, s49                                   // 000000008E9C: 807C31FF 00000400
	v_mfma_f32_16x16x32_fp8_fp8 v[88:91], a[142:143], a[22:23], v[88:91]// 000000008EA4: D3F30058 1D622D8E
	v_mfma_f32_16x16x32_fp8_fp8 v[92:95], a[136:137], a[24:25], v[92:95]// 000000008EAC: D3F3005C 1D723188
	buffer_load_dword v66, s[20:23], 0 offen lds               // 000000008EB4: E0511000 80050042
	s_add_u32 m0, 0x500, s49                                   // 000000008EBC: 807C31FF 00000500
	v_mfma_f32_16x16x32_fp8_fp8 v[92:95], a[138:139], a[26:27], v[92:95]// 000000008EC4: D3F3005C 1D72358A
	v_mfma_f32_16x16x32_fp8_fp8 v[92:95], a[140:141], a[28:29], v[92:95]// 000000008ECC: D3F3005C 1D72398C
	buffer_load_dword v67, s[20:23], 0 offen lds               // 000000008ED4: E0511000 80050043
	s_add_u32 m0, 0x600, s49                                   // 000000008EDC: 807C31FF 00000600
	v_mfma_f32_16x16x32_fp8_fp8 v[92:95], a[142:143], a[30:31], v[92:95]// 000000008EE4: D3F3005C 1D723D8E
	v_mfma_f32_16x16x32_fp8_fp8 v[96:99], a[136:137], a[32:33], v[96:99]// 000000008EEC: D3F30060 1D824188
	v_mfma_f32_16x16x32_fp8_fp8 v[96:99], a[138:139], a[34:35], v[96:99]// 000000008EF4: D3F30060 1D82458A
	v_mfma_f32_16x16x32_fp8_fp8 v[96:99], a[140:141], a[36:37], v[96:99]// 000000008EFC: D3F30060 1D82498C
	v_mfma_f32_16x16x32_fp8_fp8 v[96:99], a[142:143], a[38:39], v[96:99]// 000000008F04: D3F30060 1D824D8E
	v_mfma_f32_16x16x32_fp8_fp8 v[100:103], a[136:137], a[40:41], v[100:103]// 000000008F0C: D3F30064 1D925188
	buffer_load_dword v68, s[20:23], 0 offen lds               // 000000008F14: E0511000 80050044
	s_add_u32 m0, 0x700, s49                                   // 000000008F1C: 807C31FF 00000700
	v_mfma_f32_16x16x32_fp8_fp8 v[100:103], a[138:139], a[42:43], v[100:103]// 000000008F24: D3F30064 1D92558A
	v_mfma_f32_16x16x32_fp8_fp8 v[100:103], a[140:141], a[44:45], v[100:103]// 000000008F2C: D3F30064 1D92598C
	buffer_load_dword v69, s[20:23], 0 offen lds               // 000000008F34: E0511000 80050045
	s_add_u32 m0, 0x800, s49                                   // 000000008F3C: 807C31FF 00000800
	v_mfma_f32_16x16x32_fp8_fp8 v[100:103], a[142:143], a[46:47], v[100:103]// 000000008F44: D3F30064 1D925D8E
	v_mfma_f32_16x16x32_fp8_fp8 v[104:107], a[136:137], a[48:49], v[104:107]// 000000008F4C: D3F30068 1DA26188
	v_mfma_f32_16x16x32_fp8_fp8 v[104:107], a[138:139], a[50:51], v[104:107]// 000000008F54: D3F30068 1DA2658A
	v_mfma_f32_16x16x32_fp8_fp8 v[104:107], a[140:141], a[52:53], v[104:107]// 000000008F5C: D3F30068 1DA2698C
	v_mfma_f32_16x16x32_fp8_fp8 v[104:107], a[142:143], a[54:55], v[104:107]// 000000008F64: D3F30068 1DA26D8E
	v_mfma_f32_16x16x32_fp8_fp8 v[108:111], a[136:137], a[56:57], v[108:111]// 000000008F6C: D3F3006C 1DB27188
	buffer_load_dword v70, s[20:23], 0 offen lds               // 000000008F74: E0511000 80050046
	s_add_u32 m0, 0x900, s49                                   // 000000008F7C: 807C31FF 00000900
	v_mfma_f32_16x16x32_fp8_fp8 v[108:111], a[138:139], a[58:59], v[108:111]// 000000008F84: D3F3006C 1DB2758A
	v_mfma_f32_16x16x32_fp8_fp8 v[108:111], a[140:141], a[60:61], v[108:111]// 000000008F8C: D3F3006C 1DB2798C
	buffer_load_dword v71, s[20:23], 0 offen lds               // 000000008F94: E0511000 80050047
	s_add_u32 m0, 0xa00, s49                                   // 000000008F9C: 807C31FF 00000A00
	v_mfma_f32_16x16x32_fp8_fp8 v[108:111], a[142:143], a[62:63], v[108:111]// 000000008FA4: D3F3006C 1DB27D8E
	buffer_load_dword v72, s[20:23], 0 offen lds               // 000000008FAC: E0511000 80050048
	s_add_u32 m0, 0xb00, s49                                   // 000000008FB4: 807C31FF 00000B00
	buffer_load_dword v73, s[20:23], 0 offen lds               // 000000008FBC: E0511000 80050049
	s_add_u32 m0, 0xc00, s49                                   // 000000008FC4: 807C31FF 00000C00
	buffer_load_dword v74, s[20:23], 0 offen lds               // 000000008FCC: E0511000 8005004A
	s_add_u32 m0, 0xd00, s49                                   // 000000008FD4: 807C31FF 00000D00
	buffer_load_dword v75, s[20:23], 0 offen lds               // 000000008FDC: E0511000 8005004B
	s_add_u32 m0, 0xe00, s49                                   // 000000008FE4: 807C31FF 00000E00
	buffer_load_dword v76, s[20:23], 0 offen lds               // 000000008FEC: E0511000 8005004C
	s_add_u32 m0, 0xf00, s49                                   // 000000008FF4: 807C31FF 00000F00
	buffer_load_dword v77, s[20:23], 0 offen lds               // 000000008FFC: E0511000 8005004D
	s_add_u32 m0, 0, s50                                       // 000000009004: 807C3280
	s_waitcnt vmcnt(18)                                        // 000000009008: BF8C4F72
	s_barrier                                                  // 00000000900C: BF8A0000
	v_mfma_f32_16x16x32_fp8_fp8 v[112:115], a[144:145], a[0:1], v[112:115]// 000000009010: D3F30070 1DC20190
	buffer_load_dwordx4 a[136:139], v78, s[84:87], 0 offen     // 000000009018: E05C1000 8095884E
	v_mfma_f32_16x16x32_fp8_fp8 v[112:115], a[146:147], a[2:3], v[112:115]// 000000009020: D3F30070 1DC20592
	v_mfma_f32_16x16x32_fp8_fp8 v[112:115], a[148:149], a[4:5], v[112:115]// 000000009028: D3F30070 1DC20994
	ds_read_b128 a[64:67], v2                                  // 000000009030: DBFE0000 40000002
	ds_read_b128 a[68:71], v2 offset:64                        // 000000009038: DBFE0040 44000002
	v_mfma_f32_16x16x32_fp8_fp8 v[112:115], a[150:151], a[6:7], v[112:115]// 000000009040: D3F30070 1DC20D96
	v_mfma_f32_16x16x32_fp8_fp8 v[116:119], a[144:145], a[8:9], v[116:119]// 000000009048: D3F30074 1DD21190
	buffer_load_dwordx4 a[140:143], v78, s[84:87], 0 offen offset:1024// 000000009050: E05C1400 80958C4E
	v_mfma_f32_16x16x32_fp8_fp8 v[116:119], a[146:147], a[10:11], v[116:119]// 000000009058: D3F30074 1DD21592
	v_mfma_f32_16x16x32_fp8_fp8 v[116:119], a[148:149], a[12:13], v[116:119]// 000000009060: D3F30074 1DD21994
	ds_read_b128 a[72:75], v2 offset:512                       // 000000009068: DBFE0200 48000002
	ds_read_b128 a[76:79], v2 offset:576                       // 000000009070: DBFE0240 4C000002
	v_mfma_f32_16x16x32_fp8_fp8 v[116:119], a[150:151], a[14:15], v[116:119]// 000000009078: D3F30074 1DD21D96
	v_mfma_f32_16x16x32_fp8_fp8 v[120:123], a[144:145], a[16:17], v[120:123]// 000000009080: D3F30078 1DE22190
	v_mfma_f32_16x16x32_fp8_fp8 v[120:123], a[146:147], a[18:19], v[120:123]// 000000009088: D3F30078 1DE22592
	v_mfma_f32_16x16x32_fp8_fp8 v[120:123], a[148:149], a[20:21], v[120:123]// 000000009090: D3F30078 1DE22994
	ds_read_b128 a[80:83], v2 offset:1024                      // 000000009098: DBFE0400 50000002
	ds_read_b128 a[84:87], v2 offset:1088                      // 0000000090A0: DBFE0440 54000002
	v_mfma_f32_16x16x32_fp8_fp8 v[120:123], a[150:151], a[22:23], v[120:123]// 0000000090A8: D3F30078 1DE22D96
	v_mfma_f32_16x16x32_fp8_fp8 v[124:127], a[144:145], a[24:25], v[124:127]// 0000000090B0: D3F3007C 1DF23190
	v_mfma_f32_16x16x32_fp8_fp8 v[124:127], a[146:147], a[26:27], v[124:127]// 0000000090B8: D3F3007C 1DF23592
	v_mfma_f32_16x16x32_fp8_fp8 v[124:127], a[148:149], a[28:29], v[124:127]// 0000000090C0: D3F3007C 1DF23994
	ds_read_b128 a[88:91], v2 offset:1536                      // 0000000090C8: DBFE0600 58000002
	ds_read_b128 a[92:95], v2 offset:1600                      // 0000000090D0: DBFE0640 5C000002
	v_mfma_f32_16x16x32_fp8_fp8 v[124:127], a[150:151], a[30:31], v[124:127]// 0000000090D8: D3F3007C 1DF23D96
	v_mfma_f32_16x16x32_fp8_fp8 v[128:131], a[144:145], a[32:33], v[128:131]// 0000000090E0: D3F30080 1E024190
	v_mfma_f32_16x16x32_fp8_fp8 v[128:131], a[146:147], a[34:35], v[128:131]// 0000000090E8: D3F30080 1E024592
	v_mfma_f32_16x16x32_fp8_fp8 v[128:131], a[148:149], a[36:37], v[128:131]// 0000000090F0: D3F30080 1E024994
	ds_read_b128 a[96:99], v2 offset:2048                      // 0000000090F8: DBFE0800 60000002
	ds_read_b128 a[100:103], v2 offset:2112                    // 000000009100: DBFE0840 64000002
	v_mfma_f32_16x16x32_fp8_fp8 v[128:131], a[150:151], a[38:39], v[128:131]// 000000009108: D3F30080 1E024D96
	v_mfma_f32_16x16x32_fp8_fp8 v[132:135], a[144:145], a[40:41], v[132:135]// 000000009110: D3F30084 1E125190
	v_mfma_f32_16x16x32_fp8_fp8 v[132:135], a[146:147], a[42:43], v[132:135]// 000000009118: D3F30084 1E125592
	v_mfma_f32_16x16x32_fp8_fp8 v[132:135], a[148:149], a[44:45], v[132:135]// 000000009120: D3F30084 1E125994
	ds_read_b128 a[104:107], v2 offset:2560                    // 000000009128: DBFE0A00 68000002
	ds_read_b128 a[108:111], v2 offset:2624                    // 000000009130: DBFE0A40 6C000002
	v_mfma_f32_16x16x32_fp8_fp8 v[132:135], a[150:151], a[46:47], v[132:135]// 000000009138: D3F30084 1E125D96
	v_mfma_f32_16x16x32_fp8_fp8 v[136:139], a[144:145], a[48:49], v[136:139]// 000000009140: D3F30088 1E226190
	s_add_u32 s60, 0x180, s80                                  // 000000009148: 803C50FF 00000180
	s_cmp_lt_u32 s60, s81                                      // 000000009150: BF0A513C
	s_cselect_b32 s57, s57, 0                                  // 000000009154: 85398039
	v_mfma_f32_16x16x32_fp8_fp8 v[136:139], a[146:147], a[50:51], v[136:139]// 000000009158: D3F30088 1E226592
	s_add_u32 s60, 0x100, s80                                  // 000000009160: 803C50FF 00000100
	s_cmp_lt_u32 s60, s81                                      // 000000009168: BF0A513C
	s_cselect_b32 s58, s58, 0                                  // 00000000916C: 853A803A
	v_mfma_f32_16x16x32_fp8_fp8 v[136:139], a[148:149], a[52:53], v[136:139]// 000000009170: D3F30088 1E226994
	ds_read_b128 a[112:115], v2 offset:3072                    // 000000009178: DBFE0C00 70000002
	ds_read_b128 a[116:119], v2 offset:3136                    // 000000009180: DBFE0C40 74000002
	s_add_u32 s60, 0x100, s80                                  // 000000009188: 803C50FF 00000100
	s_cmp_lt_u32 s60, s81                                      // 000000009190: BF0A513C
	s_cselect_b32 s83, s83, 0                                  // 000000009194: 85538053
	v_mfma_f32_16x16x32_fp8_fp8 v[136:139], a[150:151], a[54:55], v[136:139]// 000000009198: D3F30088 1E226D96
	s_add_u32 s24, s58, s24                                    // 0000000091A0: 8018183A
	s_addc_u32 s25, 0, s25                                     // 0000000091A4: 82191980
	v_mfma_f32_16x16x32_fp8_fp8 v[140:143], a[144:145], a[56:57], v[140:143]// 0000000091A8: D3F3008C 1E327190
	s_add_u32 s20, s57, s20                                    // 0000000091B0: 80141439
	s_addc_u32 s21, 0, s21                                     // 0000000091B4: 82151580
	v_mfma_f32_16x16x32_fp8_fp8 v[140:143], a[146:147], a[58:59], v[140:143]// 0000000091B8: D3F3008C 1E327592
	s_add_u32 s84, s83, s84                                    // 0000000091C0: 80545453
	s_addc_u32 s85, 0, s85                                     // 0000000091C4: 82555580
	v_mfma_f32_16x16x32_fp8_fp8 v[140:143], a[148:149], a[60:61], v[140:143]// 0000000091C8: D3F3008C 1E327994
	ds_read_b128 a[120:123], v2 offset:3584                    // 0000000091D0: DBFE0E00 78000002
	ds_read_b128 a[124:127], v2 offset:3648                    // 0000000091D8: DBFE0E40 7C000002
	v_mfma_f32_16x16x32_fp8_fp8 v[140:143], a[150:151], a[62:63], v[140:143]// 0000000091E0: D3F3008C 1E327D96
	s_addk_i32 s80, 0x80                                       // 0000000091E8: B7500080
	s_cmp_lt_i32 s80, s81                                      // 0000000091EC: BF045150
	s_cbranch_scc0 label_1CFE                                  // 0000000091F0: BF8402FE
	s_waitcnt vmcnt(18) lgkmcnt(0)                             // 0000000091F4: BF8C4072
	v_mfma_f32_16x16x32_fp8_fp8 v[80:83], a[128:129], a[64:65], v[80:83]// 0000000091F8: D3F30050 1D428180
	buffer_load_dwordx4 a[144:147], v78, s[24:27], 0 offen     // 000000009200: E05C1000 8086904E
	v_mfma_f32_16x16x32_fp8_fp8 v[80:83], a[130:131], a[66:67], v[80:83]// 000000009208: D3F30050 1D428582
	v_mfma_f32_16x16x32_fp8_fp8 v[80:83], a[132:133], a[68:69], v[80:83]// 000000009210: D3F30050 1D428984
	v_mfma_f32_16x16x32_fp8_fp8 v[80:83], a[134:135], a[70:71], v[80:83]// 000000009218: D3F30050 1D428D86
	v_mfma_f32_16x16x32_fp8_fp8 v[84:87], a[128:129], a[72:73], v[84:87]// 000000009220: D3F30054 1D529180
	buffer_load_dwordx4 a[148:151], v78, s[24:27], 0 offen offset:1024// 000000009228: E05C1400 8086944E
	buffer_load_dword v62, s[20:23], 0 offen lds               // 000000009230: E0511000 8005003E
	s_add_u32 m0, 0x100, s50                                   // 000000009238: 807C32FF 00000100
	v_mfma_f32_16x16x32_fp8_fp8 v[84:87], a[130:131], a[74:75], v[84:87]// 000000009240: D3F30054 1D529582
	v_mfma_f32_16x16x32_fp8_fp8 v[84:87], a[132:133], a[76:77], v[84:87]// 000000009248: D3F30054 1D529984
	buffer_load_dword v63, s[20:23], 0 offen lds               // 000000009250: E0511000 8005003F
	s_add_u32 m0, 0x200, s50                                   // 000000009258: 807C32FF 00000200
	v_mfma_f32_16x16x32_fp8_fp8 v[84:87], a[134:135], a[78:79], v[84:87]// 000000009260: D3F30054 1D529D86
	v_mfma_f32_16x16x32_fp8_fp8 v[88:91], a[128:129], a[80:81], v[88:91]// 000000009268: D3F30058 1D62A180
	buffer_load_dword v64, s[20:23], 0 offen lds               // 000000009270: E0511000 80050040
	s_add_u32 m0, 0x300, s50                                   // 000000009278: 807C32FF 00000300
	v_mfma_f32_16x16x32_fp8_fp8 v[88:91], a[130:131], a[82:83], v[88:91]// 000000009280: D3F30058 1D62A582
	v_mfma_f32_16x16x32_fp8_fp8 v[88:91], a[132:133], a[84:85], v[88:91]// 000000009288: D3F30058 1D62A984
	buffer_load_dword v65, s[20:23], 0 offen lds               // 000000009290: E0511000 80050041
	s_add_u32 m0, 0x400, s50                                   // 000000009298: 807C32FF 00000400
	v_mfma_f32_16x16x32_fp8_fp8 v[88:91], a[134:135], a[86:87], v[88:91]// 0000000092A0: D3F30058 1D62AD86
	v_mfma_f32_16x16x32_fp8_fp8 v[92:95], a[128:129], a[88:89], v[92:95]// 0000000092A8: D3F3005C 1D72B180
	buffer_load_dword v66, s[20:23], 0 offen lds               // 0000000092B0: E0511000 80050042
	s_add_u32 m0, 0x500, s50                                   // 0000000092B8: 807C32FF 00000500
	v_mfma_f32_16x16x32_fp8_fp8 v[92:95], a[130:131], a[90:91], v[92:95]// 0000000092C0: D3F3005C 1D72B582
	v_mfma_f32_16x16x32_fp8_fp8 v[92:95], a[132:133], a[92:93], v[92:95]// 0000000092C8: D3F3005C 1D72B984
	buffer_load_dword v67, s[20:23], 0 offen lds               // 0000000092D0: E0511000 80050043
	s_add_u32 m0, 0x600, s50                                   // 0000000092D8: 807C32FF 00000600
	v_mfma_f32_16x16x32_fp8_fp8 v[92:95], a[134:135], a[94:95], v[92:95]// 0000000092E0: D3F3005C 1D72BD86
	v_mfma_f32_16x16x32_fp8_fp8 v[96:99], a[128:129], a[96:97], v[96:99]// 0000000092E8: D3F30060 1D82C180
	v_mfma_f32_16x16x32_fp8_fp8 v[96:99], a[130:131], a[98:99], v[96:99]// 0000000092F0: D3F30060 1D82C582
	v_mfma_f32_16x16x32_fp8_fp8 v[96:99], a[132:133], a[100:101], v[96:99]// 0000000092F8: D3F30060 1D82C984
	v_mfma_f32_16x16x32_fp8_fp8 v[96:99], a[134:135], a[102:103], v[96:99]// 000000009300: D3F30060 1D82CD86
	v_mfma_f32_16x16x32_fp8_fp8 v[100:103], a[128:129], a[104:105], v[100:103]// 000000009308: D3F30064 1D92D180
	buffer_load_dword v68, s[20:23], 0 offen lds               // 000000009310: E0511000 80050044
	s_add_u32 m0, 0x700, s50                                   // 000000009318: 807C32FF 00000700
	v_mfma_f32_16x16x32_fp8_fp8 v[100:103], a[130:131], a[106:107], v[100:103]// 000000009320: D3F30064 1D92D582
	v_mfma_f32_16x16x32_fp8_fp8 v[100:103], a[132:133], a[108:109], v[100:103]// 000000009328: D3F30064 1D92D984
	buffer_load_dword v69, s[20:23], 0 offen lds               // 000000009330: E0511000 80050045
	s_add_u32 m0, 0x800, s50                                   // 000000009338: 807C32FF 00000800
	v_mfma_f32_16x16x32_fp8_fp8 v[100:103], a[134:135], a[110:111], v[100:103]// 000000009340: D3F30064 1D92DD86
	v_mfma_f32_16x16x32_fp8_fp8 v[104:107], a[128:129], a[112:113], v[104:107]// 000000009348: D3F30068 1DA2E180
	v_mfma_f32_16x16x32_fp8_fp8 v[104:107], a[130:131], a[114:115], v[104:107]// 000000009350: D3F30068 1DA2E582
	v_mfma_f32_16x16x32_fp8_fp8 v[104:107], a[132:133], a[116:117], v[104:107]// 000000009358: D3F30068 1DA2E984
	v_mfma_f32_16x16x32_fp8_fp8 v[104:107], a[134:135], a[118:119], v[104:107]// 000000009360: D3F30068 1DA2ED86
	v_mfma_f32_16x16x32_fp8_fp8 v[108:111], a[128:129], a[120:121], v[108:111]// 000000009368: D3F3006C 1DB2F180
	buffer_load_dword v70, s[20:23], 0 offen lds               // 000000009370: E0511000 80050046
	s_add_u32 m0, 0x900, s50                                   // 000000009378: 807C32FF 00000900
	v_mfma_f32_16x16x32_fp8_fp8 v[108:111], a[130:131], a[122:123], v[108:111]// 000000009380: D3F3006C 1DB2F582
	v_mfma_f32_16x16x32_fp8_fp8 v[108:111], a[132:133], a[124:125], v[108:111]// 000000009388: D3F3006C 1DB2F984
	buffer_load_dword v71, s[20:23], 0 offen lds               // 000000009390: E0511000 80050047
	s_add_u32 m0, 0xa00, s50                                   // 000000009398: 807C32FF 00000A00
	v_mfma_f32_16x16x32_fp8_fp8 v[108:111], a[134:135], a[126:127], v[108:111]// 0000000093A0: D3F3006C 1DB2FD86
	buffer_load_dword v72, s[20:23], 0 offen lds               // 0000000093A8: E0511000 80050048
	s_add_u32 m0, 0xb00, s50                                   // 0000000093B0: 807C32FF 00000B00
	buffer_load_dword v73, s[20:23], 0 offen lds               // 0000000093B8: E0511000 80050049
	s_add_u32 m0, 0xc00, s50                                   // 0000000093C0: 807C32FF 00000C00
	buffer_load_dword v74, s[20:23], 0 offen lds               // 0000000093C8: E0511000 8005004A
	s_add_u32 m0, 0xd00, s50                                   // 0000000093D0: 807C32FF 00000D00
	buffer_load_dword v75, s[20:23], 0 offen lds               // 0000000093D8: E0511000 8005004B
	s_add_u32 m0, 0xe00, s50                                   // 0000000093E0: 807C32FF 00000E00
	buffer_load_dword v76, s[20:23], 0 offen lds               // 0000000093E8: E0511000 8005004C
	s_add_u32 m0, 0xf00, s50                                   // 0000000093F0: 807C32FF 00000F00
	buffer_load_dword v77, s[20:23], 0 offen lds               // 0000000093F8: E0511000 8005004D
	s_add_u32 m0, 0, s48                                       // 000000009400: 807C3080
	s_waitcnt vmcnt(18)                                        // 000000009404: BF8C4F72
	s_barrier                                                  // 000000009408: BF8A0000
	v_mfma_f32_16x16x32_fp8_fp8 v[112:115], a[136:137], a[64:65], v[112:115]// 00000000940C: D3F30070 1DC28188
	buffer_load_dwordx4 a[128:131], v78, s[84:87], 0 offen     // 000000009414: E05C1000 8095804E
	v_mfma_f32_16x16x32_fp8_fp8 v[112:115], a[138:139], a[66:67], v[112:115]// 00000000941C: D3F30070 1DC2858A
	v_mfma_f32_16x16x32_fp8_fp8 v[112:115], a[140:141], a[68:69], v[112:115]// 000000009424: D3F30070 1DC2898C
	ds_read_b128 a[0:3], v2 offset:16512                       // 00000000942C: DBFE4080 00000002
	ds_read_b128 a[4:7], v2 offset:16576                       // 000000009434: DBFE40C0 04000002
	v_mfma_f32_16x16x32_fp8_fp8 v[112:115], a[142:143], a[70:71], v[112:115]// 00000000943C: D3F30070 1DC28D8E
	v_mfma_f32_16x16x32_fp8_fp8 v[116:119], a[136:137], a[72:73], v[116:119]// 000000009444: D3F30074 1DD29188
	buffer_load_dwordx4 a[132:135], v78, s[84:87], 0 offen offset:1024// 00000000944C: E05C1400 8095844E
	v_mfma_f32_16x16x32_fp8_fp8 v[116:119], a[138:139], a[74:75], v[116:119]// 000000009454: D3F30074 1DD2958A
	v_mfma_f32_16x16x32_fp8_fp8 v[116:119], a[140:141], a[76:77], v[116:119]// 00000000945C: D3F30074 1DD2998C
	ds_read_b128 a[8:11], v2 offset:17024                      // 000000009464: DBFE4280 08000002
	ds_read_b128 a[12:15], v2 offset:17088                     // 00000000946C: DBFE42C0 0C000002
	v_mfma_f32_16x16x32_fp8_fp8 v[116:119], a[142:143], a[78:79], v[116:119]// 000000009474: D3F30074 1DD29D8E
	v_mfma_f32_16x16x32_fp8_fp8 v[120:123], a[136:137], a[80:81], v[120:123]// 00000000947C: D3F30078 1DE2A188
	v_mfma_f32_16x16x32_fp8_fp8 v[120:123], a[138:139], a[82:83], v[120:123]// 000000009484: D3F30078 1DE2A58A
	v_mfma_f32_16x16x32_fp8_fp8 v[120:123], a[140:141], a[84:85], v[120:123]// 00000000948C: D3F30078 1DE2A98C
	ds_read_b128 a[16:19], v2 offset:17536                     // 000000009494: DBFE4480 10000002
	ds_read_b128 a[20:23], v2 offset:17600                     // 00000000949C: DBFE44C0 14000002
	v_mfma_f32_16x16x32_fp8_fp8 v[120:123], a[142:143], a[86:87], v[120:123]// 0000000094A4: D3F30078 1DE2AD8E
	v_mfma_f32_16x16x32_fp8_fp8 v[124:127], a[136:137], a[88:89], v[124:127]// 0000000094AC: D3F3007C 1DF2B188
	v_mfma_f32_16x16x32_fp8_fp8 v[124:127], a[138:139], a[90:91], v[124:127]// 0000000094B4: D3F3007C 1DF2B58A
	v_mfma_f32_16x16x32_fp8_fp8 v[124:127], a[140:141], a[92:93], v[124:127]// 0000000094BC: D3F3007C 1DF2B98C
	ds_read_b128 a[24:27], v2 offset:18048                     // 0000000094C4: DBFE4680 18000002
	ds_read_b128 a[28:31], v2 offset:18112                     // 0000000094CC: DBFE46C0 1C000002
	v_mfma_f32_16x16x32_fp8_fp8 v[124:127], a[142:143], a[94:95], v[124:127]// 0000000094D4: D3F3007C 1DF2BD8E
	v_mfma_f32_16x16x32_fp8_fp8 v[128:131], a[136:137], a[96:97], v[128:131]// 0000000094DC: D3F30080 1E02C188
	v_mfma_f32_16x16x32_fp8_fp8 v[128:131], a[138:139], a[98:99], v[128:131]// 0000000094E4: D3F30080 1E02C58A
	v_mfma_f32_16x16x32_fp8_fp8 v[128:131], a[140:141], a[100:101], v[128:131]// 0000000094EC: D3F30080 1E02C98C
	ds_read_b128 a[32:35], v2 offset:18560                     // 0000000094F4: DBFE4880 20000002
	ds_read_b128 a[36:39], v2 offset:18624                     // 0000000094FC: DBFE48C0 24000002
	v_mfma_f32_16x16x32_fp8_fp8 v[128:131], a[142:143], a[102:103], v[128:131]// 000000009504: D3F30080 1E02CD8E
	v_mfma_f32_16x16x32_fp8_fp8 v[132:135], a[136:137], a[104:105], v[132:135]// 00000000950C: D3F30084 1E12D188
	v_mfma_f32_16x16x32_fp8_fp8 v[132:135], a[138:139], a[106:107], v[132:135]// 000000009514: D3F30084 1E12D58A
	v_mfma_f32_16x16x32_fp8_fp8 v[132:135], a[140:141], a[108:109], v[132:135]// 00000000951C: D3F30084 1E12D98C
	ds_read_b128 a[40:43], v2 offset:19072                     // 000000009524: DBFE4A80 28000002
	ds_read_b128 a[44:47], v2 offset:19136                     // 00000000952C: DBFE4AC0 2C000002
	v_mfma_f32_16x16x32_fp8_fp8 v[132:135], a[142:143], a[110:111], v[132:135]// 000000009534: D3F30084 1E12DD8E
	v_mfma_f32_16x16x32_fp8_fp8 v[136:139], a[136:137], a[112:113], v[136:139]// 00000000953C: D3F30088 1E22E188
	s_add_u32 s60, 0x180, s80                                  // 000000009544: 803C50FF 00000180
	s_cmp_lt_u32 s60, s81                                      // 00000000954C: BF0A513C
	s_cselect_b32 s57, s57, 0                                  // 000000009550: 85398039
	v_mfma_f32_16x16x32_fp8_fp8 v[136:139], a[138:139], a[114:115], v[136:139]// 000000009554: D3F30088 1E22E58A
	s_add_u32 s60, 0x100, s80                                  // 00000000955C: 803C50FF 00000100
	s_cmp_lt_u32 s60, s81                                      // 000000009564: BF0A513C
	s_cselect_b32 s58, s58, 0                                  // 000000009568: 853A803A
	v_mfma_f32_16x16x32_fp8_fp8 v[136:139], a[140:141], a[116:117], v[136:139]// 00000000956C: D3F30088 1E22E98C
	ds_read_b128 a[48:51], v2 offset:19584                     // 000000009574: DBFE4C80 30000002
	ds_read_b128 a[52:55], v2 offset:19648                     // 00000000957C: DBFE4CC0 34000002
	s_add_u32 s60, 0x100, s80                                  // 000000009584: 803C50FF 00000100
	s_cmp_lt_u32 s60, s81                                      // 00000000958C: BF0A513C
	s_cselect_b32 s83, s83, 0                                  // 000000009590: 85538053
	v_mfma_f32_16x16x32_fp8_fp8 v[136:139], a[142:143], a[118:119], v[136:139]// 000000009594: D3F30088 1E22ED8E
	s_add_u32 s24, s58, s24                                    // 00000000959C: 8018183A
	s_addc_u32 s25, 0, s25                                     // 0000000095A0: 82191980
	v_mfma_f32_16x16x32_fp8_fp8 v[140:143], a[136:137], a[120:121], v[140:143]// 0000000095A4: D3F3008C 1E32F188
	s_add_u32 s20, s57, s20                                    // 0000000095AC: 80141439
	s_addc_u32 s21, 0, s21                                     // 0000000095B0: 82151580
	v_mfma_f32_16x16x32_fp8_fp8 v[140:143], a[138:139], a[122:123], v[140:143]// 0000000095B4: D3F3008C 1E32F58A
	s_add_u32 s84, s83, s84                                    // 0000000095BC: 80545453
	s_addc_u32 s85, 0, s85                                     // 0000000095C0: 82555580
	v_mfma_f32_16x16x32_fp8_fp8 v[140:143], a[140:141], a[124:125], v[140:143]// 0000000095C4: D3F3008C 1E32F98C
	ds_read_b128 a[56:59], v2 offset:20096                     // 0000000095CC: DBFE4E80 38000002
	ds_read_b128 a[60:63], v2 offset:20160                     // 0000000095D4: DBFE4EC0 3C000002
	v_mfma_f32_16x16x32_fp8_fp8 v[140:143], a[142:143], a[126:127], v[140:143]// 0000000095DC: D3F3008C 1E32FD8E
	s_addk_i32 s80, 0x80                                       // 0000000095E4: B7500080
	s_cmp_lt_i32 s80, s81                                      // 0000000095E8: BF045150
	s_cbranch_scc0 label_1CFE                                  // 0000000095EC: BF8401FF
	s_waitcnt vmcnt(18) lgkmcnt(0)                             // 0000000095F0: BF8C4072
	v_mfma_f32_16x16x32_fp8_fp8 v[80:83], a[144:145], a[0:1], v[80:83]// 0000000095F4: D3F30050 1D420190
	buffer_load_dwordx4 a[136:139], v78, s[24:27], 0 offen     // 0000000095FC: E05C1000 8086884E
	v_mfma_f32_16x16x32_fp8_fp8 v[80:83], a[146:147], a[2:3], v[80:83]// 000000009604: D3F30050 1D420592
	v_mfma_f32_16x16x32_fp8_fp8 v[80:83], a[148:149], a[4:5], v[80:83]// 00000000960C: D3F30050 1D420994
	v_mfma_f32_16x16x32_fp8_fp8 v[80:83], a[150:151], a[6:7], v[80:83]// 000000009614: D3F30050 1D420D96
	v_mfma_f32_16x16x32_fp8_fp8 v[84:87], a[144:145], a[8:9], v[84:87]// 00000000961C: D3F30054 1D521190
	buffer_load_dwordx4 a[140:143], v78, s[24:27], 0 offen offset:1024// 000000009624: E05C1400 80868C4E
	buffer_load_dword v62, s[20:23], 0 offen lds               // 00000000962C: E0511000 8005003E
	s_add_u32 m0, 0x100, s48                                   // 000000009634: 807C30FF 00000100
	v_mfma_f32_16x16x32_fp8_fp8 v[84:87], a[146:147], a[10:11], v[84:87]// 00000000963C: D3F30054 1D521592
	v_mfma_f32_16x16x32_fp8_fp8 v[84:87], a[148:149], a[12:13], v[84:87]// 000000009644: D3F30054 1D521994
	buffer_load_dword v63, s[20:23], 0 offen lds               // 00000000964C: E0511000 8005003F
	s_add_u32 m0, 0x200, s48                                   // 000000009654: 807C30FF 00000200
	v_mfma_f32_16x16x32_fp8_fp8 v[84:87], a[150:151], a[14:15], v[84:87]// 00000000965C: D3F30054 1D521D96
	v_mfma_f32_16x16x32_fp8_fp8 v[88:91], a[144:145], a[16:17], v[88:91]// 000000009664: D3F30058 1D622190
	buffer_load_dword v64, s[20:23], 0 offen lds               // 00000000966C: E0511000 80050040
	s_add_u32 m0, 0x300, s48                                   // 000000009674: 807C30FF 00000300
	v_mfma_f32_16x16x32_fp8_fp8 v[88:91], a[146:147], a[18:19], v[88:91]// 00000000967C: D3F30058 1D622592
	v_mfma_f32_16x16x32_fp8_fp8 v[88:91], a[148:149], a[20:21], v[88:91]// 000000009684: D3F30058 1D622994
	buffer_load_dword v65, s[20:23], 0 offen lds               // 00000000968C: E0511000 80050041
	s_add_u32 m0, 0x400, s48                                   // 000000009694: 807C30FF 00000400
	v_mfma_f32_16x16x32_fp8_fp8 v[88:91], a[150:151], a[22:23], v[88:91]// 00000000969C: D3F30058 1D622D96
	v_mfma_f32_16x16x32_fp8_fp8 v[92:95], a[144:145], a[24:25], v[92:95]// 0000000096A4: D3F3005C 1D723190
	buffer_load_dword v66, s[20:23], 0 offen lds               // 0000000096AC: E0511000 80050042
	s_add_u32 m0, 0x500, s48                                   // 0000000096B4: 807C30FF 00000500
	v_mfma_f32_16x16x32_fp8_fp8 v[92:95], a[146:147], a[26:27], v[92:95]// 0000000096BC: D3F3005C 1D723592
	v_mfma_f32_16x16x32_fp8_fp8 v[92:95], a[148:149], a[28:29], v[92:95]// 0000000096C4: D3F3005C 1D723994
	buffer_load_dword v67, s[20:23], 0 offen lds               // 0000000096CC: E0511000 80050043
	s_add_u32 m0, 0x600, s48                                   // 0000000096D4: 807C30FF 00000600
	v_mfma_f32_16x16x32_fp8_fp8 v[92:95], a[150:151], a[30:31], v[92:95]// 0000000096DC: D3F3005C 1D723D96
	v_mfma_f32_16x16x32_fp8_fp8 v[96:99], a[144:145], a[32:33], v[96:99]// 0000000096E4: D3F30060 1D824190
	v_mfma_f32_16x16x32_fp8_fp8 v[96:99], a[146:147], a[34:35], v[96:99]// 0000000096EC: D3F30060 1D824592
	v_mfma_f32_16x16x32_fp8_fp8 v[96:99], a[148:149], a[36:37], v[96:99]// 0000000096F4: D3F30060 1D824994
	v_mfma_f32_16x16x32_fp8_fp8 v[96:99], a[150:151], a[38:39], v[96:99]// 0000000096FC: D3F30060 1D824D96
	v_mfma_f32_16x16x32_fp8_fp8 v[100:103], a[144:145], a[40:41], v[100:103]// 000000009704: D3F30064 1D925190
	buffer_load_dword v68, s[20:23], 0 offen lds               // 00000000970C: E0511000 80050044
	s_add_u32 m0, 0x700, s48                                   // 000000009714: 807C30FF 00000700
	v_mfma_f32_16x16x32_fp8_fp8 v[100:103], a[146:147], a[42:43], v[100:103]// 00000000971C: D3F30064 1D925592
	v_mfma_f32_16x16x32_fp8_fp8 v[100:103], a[148:149], a[44:45], v[100:103]// 000000009724: D3F30064 1D925994
	buffer_load_dword v69, s[20:23], 0 offen lds               // 00000000972C: E0511000 80050045
	s_add_u32 m0, 0x800, s48                                   // 000000009734: 807C30FF 00000800
	v_mfma_f32_16x16x32_fp8_fp8 v[100:103], a[150:151], a[46:47], v[100:103]// 00000000973C: D3F30064 1D925D96
	v_mfma_f32_16x16x32_fp8_fp8 v[104:107], a[144:145], a[48:49], v[104:107]// 000000009744: D3F30068 1DA26190
	v_mfma_f32_16x16x32_fp8_fp8 v[104:107], a[146:147], a[50:51], v[104:107]// 00000000974C: D3F30068 1DA26592
	v_mfma_f32_16x16x32_fp8_fp8 v[104:107], a[148:149], a[52:53], v[104:107]// 000000009754: D3F30068 1DA26994
	v_mfma_f32_16x16x32_fp8_fp8 v[104:107], a[150:151], a[54:55], v[104:107]// 00000000975C: D3F30068 1DA26D96
	v_mfma_f32_16x16x32_fp8_fp8 v[108:111], a[144:145], a[56:57], v[108:111]// 000000009764: D3F3006C 1DB27190
	buffer_load_dword v70, s[20:23], 0 offen lds               // 00000000976C: E0511000 80050046
	s_add_u32 m0, 0x900, s48                                   // 000000009774: 807C30FF 00000900
	v_mfma_f32_16x16x32_fp8_fp8 v[108:111], a[146:147], a[58:59], v[108:111]// 00000000977C: D3F3006C 1DB27592
	v_mfma_f32_16x16x32_fp8_fp8 v[108:111], a[148:149], a[60:61], v[108:111]// 000000009784: D3F3006C 1DB27994
	buffer_load_dword v71, s[20:23], 0 offen lds               // 00000000978C: E0511000 80050047
	s_add_u32 m0, 0xa00, s48                                   // 000000009794: 807C30FF 00000A00
	v_mfma_f32_16x16x32_fp8_fp8 v[108:111], a[150:151], a[62:63], v[108:111]// 00000000979C: D3F3006C 1DB27D96
	buffer_load_dword v72, s[20:23], 0 offen lds               // 0000000097A4: E0511000 80050048
	s_add_u32 m0, 0xb00, s48                                   // 0000000097AC: 807C30FF 00000B00
	buffer_load_dword v73, s[20:23], 0 offen lds               // 0000000097B4: E0511000 80050049
	s_add_u32 m0, 0xc00, s48                                   // 0000000097BC: 807C30FF 00000C00
	buffer_load_dword v74, s[20:23], 0 offen lds               // 0000000097C4: E0511000 8005004A
	s_add_u32 m0, 0xd00, s48                                   // 0000000097CC: 807C30FF 00000D00
	buffer_load_dword v75, s[20:23], 0 offen lds               // 0000000097D4: E0511000 8005004B
	s_add_u32 m0, 0xe00, s48                                   // 0000000097DC: 807C30FF 00000E00
	buffer_load_dword v76, s[20:23], 0 offen lds               // 0000000097E4: E0511000 8005004C
	s_add_u32 m0, 0xf00, s48                                   // 0000000097EC: 807C30FF 00000F00
	buffer_load_dword v77, s[20:23], 0 offen lds               // 0000000097F4: E0511000 8005004D
	s_add_u32 m0, 0, s49                                       // 0000000097FC: 807C3180
	s_waitcnt vmcnt(18)                                        // 000000009800: BF8C4F72
	s_barrier                                                  // 000000009804: BF8A0000
	v_mfma_f32_16x16x32_fp8_fp8 v[112:115], a[128:129], a[0:1], v[112:115]// 000000009808: D3F30070 1DC20180
	buffer_load_dwordx4 a[144:147], v78, s[84:87], 0 offen     // 000000009810: E05C1000 8095904E
	v_mfma_f32_16x16x32_fp8_fp8 v[112:115], a[130:131], a[2:3], v[112:115]// 000000009818: D3F30070 1DC20582
	v_mfma_f32_16x16x32_fp8_fp8 v[112:115], a[132:133], a[4:5], v[112:115]// 000000009820: D3F30070 1DC20984
	ds_read_b128 a[64:67], v2 offset:33024                     // 000000009828: DBFE8100 40000002
	ds_read_b128 a[68:71], v2 offset:33088                     // 000000009830: DBFE8140 44000002
	v_mfma_f32_16x16x32_fp8_fp8 v[112:115], a[134:135], a[6:7], v[112:115]// 000000009838: D3F30070 1DC20D86
	v_mfma_f32_16x16x32_fp8_fp8 v[116:119], a[128:129], a[8:9], v[116:119]// 000000009840: D3F30074 1DD21180
	buffer_load_dwordx4 a[148:151], v78, s[84:87], 0 offen offset:1024// 000000009848: E05C1400 8095944E
	v_mfma_f32_16x16x32_fp8_fp8 v[116:119], a[130:131], a[10:11], v[116:119]// 000000009850: D3F30074 1DD21582
	v_mfma_f32_16x16x32_fp8_fp8 v[116:119], a[132:133], a[12:13], v[116:119]// 000000009858: D3F30074 1DD21984
	ds_read_b128 a[72:75], v2 offset:33536                     // 000000009860: DBFE8300 48000002
	ds_read_b128 a[76:79], v2 offset:33600                     // 000000009868: DBFE8340 4C000002
	v_mfma_f32_16x16x32_fp8_fp8 v[116:119], a[134:135], a[14:15], v[116:119]// 000000009870: D3F30074 1DD21D86
	v_mfma_f32_16x16x32_fp8_fp8 v[120:123], a[128:129], a[16:17], v[120:123]// 000000009878: D3F30078 1DE22180
	v_mfma_f32_16x16x32_fp8_fp8 v[120:123], a[130:131], a[18:19], v[120:123]// 000000009880: D3F30078 1DE22582
	v_mfma_f32_16x16x32_fp8_fp8 v[120:123], a[132:133], a[20:21], v[120:123]// 000000009888: D3F30078 1DE22984
	ds_read_b128 a[80:83], v2 offset:34048                     // 000000009890: DBFE8500 50000002
	ds_read_b128 a[84:87], v2 offset:34112                     // 000000009898: DBFE8540 54000002
	v_mfma_f32_16x16x32_fp8_fp8 v[120:123], a[134:135], a[22:23], v[120:123]// 0000000098A0: D3F30078 1DE22D86
	v_mfma_f32_16x16x32_fp8_fp8 v[124:127], a[128:129], a[24:25], v[124:127]// 0000000098A8: D3F3007C 1DF23180
	v_mfma_f32_16x16x32_fp8_fp8 v[124:127], a[130:131], a[26:27], v[124:127]// 0000000098B0: D3F3007C 1DF23582
	v_mfma_f32_16x16x32_fp8_fp8 v[124:127], a[132:133], a[28:29], v[124:127]// 0000000098B8: D3F3007C 1DF23984
	ds_read_b128 a[88:91], v2 offset:34560                     // 0000000098C0: DBFE8700 58000002
	ds_read_b128 a[92:95], v2 offset:34624                     // 0000000098C8: DBFE8740 5C000002
	v_mfma_f32_16x16x32_fp8_fp8 v[124:127], a[134:135], a[30:31], v[124:127]// 0000000098D0: D3F3007C 1DF23D86
	v_mfma_f32_16x16x32_fp8_fp8 v[128:131], a[128:129], a[32:33], v[128:131]// 0000000098D8: D3F30080 1E024180
	v_mfma_f32_16x16x32_fp8_fp8 v[128:131], a[130:131], a[34:35], v[128:131]// 0000000098E0: D3F30080 1E024582
	v_mfma_f32_16x16x32_fp8_fp8 v[128:131], a[132:133], a[36:37], v[128:131]// 0000000098E8: D3F30080 1E024984
	ds_read_b128 a[96:99], v2 offset:35072                     // 0000000098F0: DBFE8900 60000002
	ds_read_b128 a[100:103], v2 offset:35136                   // 0000000098F8: DBFE8940 64000002
	v_mfma_f32_16x16x32_fp8_fp8 v[128:131], a[134:135], a[38:39], v[128:131]// 000000009900: D3F30080 1E024D86
	v_mfma_f32_16x16x32_fp8_fp8 v[132:135], a[128:129], a[40:41], v[132:135]// 000000009908: D3F30084 1E125180
	v_mfma_f32_16x16x32_fp8_fp8 v[132:135], a[130:131], a[42:43], v[132:135]// 000000009910: D3F30084 1E125582
	v_mfma_f32_16x16x32_fp8_fp8 v[132:135], a[132:133], a[44:45], v[132:135]// 000000009918: D3F30084 1E125984
	ds_read_b128 a[104:107], v2 offset:35584                   // 000000009920: DBFE8B00 68000002
	ds_read_b128 a[108:111], v2 offset:35648                   // 000000009928: DBFE8B40 6C000002
	v_mfma_f32_16x16x32_fp8_fp8 v[132:135], a[134:135], a[46:47], v[132:135]// 000000009930: D3F30084 1E125D86
	v_mfma_f32_16x16x32_fp8_fp8 v[136:139], a[128:129], a[48:49], v[136:139]// 000000009938: D3F30088 1E226180
	s_add_u32 s60, 0x180, s80                                  // 000000009940: 803C50FF 00000180
	s_cmp_lt_u32 s60, s81                                      // 000000009948: BF0A513C
	s_cselect_b32 s57, s57, 0                                  // 00000000994C: 85398039
	v_mfma_f32_16x16x32_fp8_fp8 v[136:139], a[130:131], a[50:51], v[136:139]// 000000009950: D3F30088 1E226582
	s_add_u32 s60, 0x100, s80                                  // 000000009958: 803C50FF 00000100
	s_cmp_lt_u32 s60, s81                                      // 000000009960: BF0A513C
	s_cselect_b32 s58, s58, 0                                  // 000000009964: 853A803A
	v_mfma_f32_16x16x32_fp8_fp8 v[136:139], a[132:133], a[52:53], v[136:139]// 000000009968: D3F30088 1E226984
	ds_read_b128 a[112:115], v2 offset:36096                   // 000000009970: DBFE8D00 70000002
	ds_read_b128 a[116:119], v2 offset:36160                   // 000000009978: DBFE8D40 74000002
	s_add_u32 s60, 0x100, s80                                  // 000000009980: 803C50FF 00000100
	s_cmp_lt_u32 s60, s81                                      // 000000009988: BF0A513C
	s_cselect_b32 s83, s83, 0                                  // 00000000998C: 85538053
	v_mfma_f32_16x16x32_fp8_fp8 v[136:139], a[134:135], a[54:55], v[136:139]// 000000009990: D3F30088 1E226D86
	s_add_u32 s24, s58, s24                                    // 000000009998: 8018183A
	s_addc_u32 s25, 0, s25                                     // 00000000999C: 82191980
	v_mfma_f32_16x16x32_fp8_fp8 v[140:143], a[128:129], a[56:57], v[140:143]// 0000000099A0: D3F3008C 1E327180
	s_add_u32 s20, s57, s20                                    // 0000000099A8: 80141439
	s_addc_u32 s21, 0, s21                                     // 0000000099AC: 82151580
	v_mfma_f32_16x16x32_fp8_fp8 v[140:143], a[130:131], a[58:59], v[140:143]// 0000000099B0: D3F3008C 1E327582
	s_add_u32 s84, s83, s84                                    // 0000000099B8: 80545453
	s_addc_u32 s85, 0, s85                                     // 0000000099BC: 82555580
	v_mfma_f32_16x16x32_fp8_fp8 v[140:143], a[132:133], a[60:61], v[140:143]// 0000000099C0: D3F3008C 1E327984
	ds_read_b128 a[120:123], v2 offset:36608                   // 0000000099C8: DBFE8F00 78000002
	ds_read_b128 a[124:127], v2 offset:36672                   // 0000000099D0: DBFE8F40 7C000002
	v_mfma_f32_16x16x32_fp8_fp8 v[140:143], a[134:135], a[62:63], v[140:143]// 0000000099D8: D3F3008C 1E327D86
	s_addk_i32 s80, 0x80                                       // 0000000099E0: B7500080
	s_cmp_lt_i32 s80, s81                                      // 0000000099E4: BF045150
	s_cbranch_scc0 label_1CFE                                  // 0000000099E8: BF840100
	s_waitcnt vmcnt(18) lgkmcnt(0)                             // 0000000099EC: BF8C4072
	v_mfma_f32_16x16x32_fp8_fp8 v[80:83], a[136:137], a[64:65], v[80:83]// 0000000099F0: D3F30050 1D428188
	buffer_load_dwordx4 a[128:131], v78, s[24:27], 0 offen     // 0000000099F8: E05C1000 8086804E
	v_mfma_f32_16x16x32_fp8_fp8 v[80:83], a[138:139], a[66:67], v[80:83]// 000000009A00: D3F30050 1D42858A
	v_mfma_f32_16x16x32_fp8_fp8 v[80:83], a[140:141], a[68:69], v[80:83]// 000000009A08: D3F30050 1D42898C
	v_mfma_f32_16x16x32_fp8_fp8 v[80:83], a[142:143], a[70:71], v[80:83]// 000000009A10: D3F30050 1D428D8E
	v_mfma_f32_16x16x32_fp8_fp8 v[84:87], a[136:137], a[72:73], v[84:87]// 000000009A18: D3F30054 1D529188
	buffer_load_dwordx4 a[132:135], v78, s[24:27], 0 offen offset:1024// 000000009A20: E05C1400 8086844E
	buffer_load_dword v62, s[20:23], 0 offen lds               // 000000009A28: E0511000 8005003E
	s_add_u32 m0, 0x100, s49                                   // 000000009A30: 807C31FF 00000100
	v_mfma_f32_16x16x32_fp8_fp8 v[84:87], a[138:139], a[74:75], v[84:87]// 000000009A38: D3F30054 1D52958A
	v_mfma_f32_16x16x32_fp8_fp8 v[84:87], a[140:141], a[76:77], v[84:87]// 000000009A40: D3F30054 1D52998C
	buffer_load_dword v63, s[20:23], 0 offen lds               // 000000009A48: E0511000 8005003F
	s_add_u32 m0, 0x200, s49                                   // 000000009A50: 807C31FF 00000200
	v_mfma_f32_16x16x32_fp8_fp8 v[84:87], a[142:143], a[78:79], v[84:87]// 000000009A58: D3F30054 1D529D8E
	v_mfma_f32_16x16x32_fp8_fp8 v[88:91], a[136:137], a[80:81], v[88:91]// 000000009A60: D3F30058 1D62A188
	buffer_load_dword v64, s[20:23], 0 offen lds               // 000000009A68: E0511000 80050040
	s_add_u32 m0, 0x300, s49                                   // 000000009A70: 807C31FF 00000300
	v_mfma_f32_16x16x32_fp8_fp8 v[88:91], a[138:139], a[82:83], v[88:91]// 000000009A78: D3F30058 1D62A58A
	v_mfma_f32_16x16x32_fp8_fp8 v[88:91], a[140:141], a[84:85], v[88:91]// 000000009A80: D3F30058 1D62A98C
	buffer_load_dword v65, s[20:23], 0 offen lds               // 000000009A88: E0511000 80050041
	s_add_u32 m0, 0x400, s49                                   // 000000009A90: 807C31FF 00000400
	v_mfma_f32_16x16x32_fp8_fp8 v[88:91], a[142:143], a[86:87], v[88:91]// 000000009A98: D3F30058 1D62AD8E
	v_mfma_f32_16x16x32_fp8_fp8 v[92:95], a[136:137], a[88:89], v[92:95]// 000000009AA0: D3F3005C 1D72B188
	buffer_load_dword v66, s[20:23], 0 offen lds               // 000000009AA8: E0511000 80050042
	s_add_u32 m0, 0x500, s49                                   // 000000009AB0: 807C31FF 00000500
	v_mfma_f32_16x16x32_fp8_fp8 v[92:95], a[138:139], a[90:91], v[92:95]// 000000009AB8: D3F3005C 1D72B58A
	v_mfma_f32_16x16x32_fp8_fp8 v[92:95], a[140:141], a[92:93], v[92:95]// 000000009AC0: D3F3005C 1D72B98C
	buffer_load_dword v67, s[20:23], 0 offen lds               // 000000009AC8: E0511000 80050043
	s_add_u32 m0, 0x600, s49                                   // 000000009AD0: 807C31FF 00000600
	v_mfma_f32_16x16x32_fp8_fp8 v[92:95], a[142:143], a[94:95], v[92:95]// 000000009AD8: D3F3005C 1D72BD8E
	v_mfma_f32_16x16x32_fp8_fp8 v[96:99], a[136:137], a[96:97], v[96:99]// 000000009AE0: D3F30060 1D82C188
	v_mfma_f32_16x16x32_fp8_fp8 v[96:99], a[138:139], a[98:99], v[96:99]// 000000009AE8: D3F30060 1D82C58A
	v_mfma_f32_16x16x32_fp8_fp8 v[96:99], a[140:141], a[100:101], v[96:99]// 000000009AF0: D3F30060 1D82C98C
	v_mfma_f32_16x16x32_fp8_fp8 v[96:99], a[142:143], a[102:103], v[96:99]// 000000009AF8: D3F30060 1D82CD8E
	v_mfma_f32_16x16x32_fp8_fp8 v[100:103], a[136:137], a[104:105], v[100:103]// 000000009B00: D3F30064 1D92D188
	buffer_load_dword v68, s[20:23], 0 offen lds               // 000000009B08: E0511000 80050044
	s_add_u32 m0, 0x700, s49                                   // 000000009B10: 807C31FF 00000700
	v_mfma_f32_16x16x32_fp8_fp8 v[100:103], a[138:139], a[106:107], v[100:103]// 000000009B18: D3F30064 1D92D58A
	v_mfma_f32_16x16x32_fp8_fp8 v[100:103], a[140:141], a[108:109], v[100:103]// 000000009B20: D3F30064 1D92D98C
	buffer_load_dword v69, s[20:23], 0 offen lds               // 000000009B28: E0511000 80050045
	s_add_u32 m0, 0x800, s49                                   // 000000009B30: 807C31FF 00000800
	v_mfma_f32_16x16x32_fp8_fp8 v[100:103], a[142:143], a[110:111], v[100:103]// 000000009B38: D3F30064 1D92DD8E
	v_mfma_f32_16x16x32_fp8_fp8 v[104:107], a[136:137], a[112:113], v[104:107]// 000000009B40: D3F30068 1DA2E188
	v_mfma_f32_16x16x32_fp8_fp8 v[104:107], a[138:139], a[114:115], v[104:107]// 000000009B48: D3F30068 1DA2E58A
	v_mfma_f32_16x16x32_fp8_fp8 v[104:107], a[140:141], a[116:117], v[104:107]// 000000009B50: D3F30068 1DA2E98C
	v_mfma_f32_16x16x32_fp8_fp8 v[104:107], a[142:143], a[118:119], v[104:107]// 000000009B58: D3F30068 1DA2ED8E
	v_mfma_f32_16x16x32_fp8_fp8 v[108:111], a[136:137], a[120:121], v[108:111]// 000000009B60: D3F3006C 1DB2F188
	buffer_load_dword v70, s[20:23], 0 offen lds               // 000000009B68: E0511000 80050046
	s_add_u32 m0, 0x900, s49                                   // 000000009B70: 807C31FF 00000900
	v_mfma_f32_16x16x32_fp8_fp8 v[108:111], a[138:139], a[122:123], v[108:111]// 000000009B78: D3F3006C 1DB2F58A
	v_mfma_f32_16x16x32_fp8_fp8 v[108:111], a[140:141], a[124:125], v[108:111]// 000000009B80: D3F3006C 1DB2F98C
	buffer_load_dword v71, s[20:23], 0 offen lds               // 000000009B88: E0511000 80050047
	s_add_u32 m0, 0xa00, s49                                   // 000000009B90: 807C31FF 00000A00
	v_mfma_f32_16x16x32_fp8_fp8 v[108:111], a[142:143], a[126:127], v[108:111]// 000000009B98: D3F3006C 1DB2FD8E
	buffer_load_dword v72, s[20:23], 0 offen lds               // 000000009BA0: E0511000 80050048
	s_add_u32 m0, 0xb00, s49                                   // 000000009BA8: 807C31FF 00000B00
	buffer_load_dword v73, s[20:23], 0 offen lds               // 000000009BB0: E0511000 80050049
	s_add_u32 m0, 0xc00, s49                                   // 000000009BB8: 807C31FF 00000C00
	buffer_load_dword v74, s[20:23], 0 offen lds               // 000000009BC0: E0511000 8005004A
	s_add_u32 m0, 0xd00, s49                                   // 000000009BC8: 807C31FF 00000D00
	buffer_load_dword v75, s[20:23], 0 offen lds               // 000000009BD0: E0511000 8005004B
	s_add_u32 m0, 0xe00, s49                                   // 000000009BD8: 807C31FF 00000E00
	buffer_load_dword v76, s[20:23], 0 offen lds               // 000000009BE0: E0511000 8005004C
	s_add_u32 m0, 0xf00, s49                                   // 000000009BE8: 807C31FF 00000F00
	buffer_load_dword v77, s[20:23], 0 offen lds               // 000000009BF0: E0511000 8005004D
	s_add_u32 m0, 0, s50                                       // 000000009BF8: 807C3280
	s_waitcnt vmcnt(18)                                        // 000000009BFC: BF8C4F72
	s_barrier                                                  // 000000009C00: BF8A0000
	v_mfma_f32_16x16x32_fp8_fp8 v[112:115], a[144:145], a[64:65], v[112:115]// 000000009C04: D3F30070 1DC28190
	buffer_load_dwordx4 a[136:139], v78, s[84:87], 0 offen     // 000000009C0C: E05C1000 8095884E
	v_mfma_f32_16x16x32_fp8_fp8 v[112:115], a[146:147], a[66:67], v[112:115]// 000000009C14: D3F30070 1DC28592
	v_mfma_f32_16x16x32_fp8_fp8 v[112:115], a[148:149], a[68:69], v[112:115]// 000000009C1C: D3F30070 1DC28994
	ds_read_b128 a[0:3], v2                                    // 000000009C24: DBFE0000 00000002
	ds_read_b128 a[4:7], v2 offset:64                          // 000000009C2C: DBFE0040 04000002
	v_mfma_f32_16x16x32_fp8_fp8 v[112:115], a[150:151], a[70:71], v[112:115]// 000000009C34: D3F30070 1DC28D96
	v_mfma_f32_16x16x32_fp8_fp8 v[116:119], a[144:145], a[72:73], v[116:119]// 000000009C3C: D3F30074 1DD29190
	buffer_load_dwordx4 a[140:143], v78, s[84:87], 0 offen offset:1024// 000000009C44: E05C1400 80958C4E
	v_mfma_f32_16x16x32_fp8_fp8 v[116:119], a[146:147], a[74:75], v[116:119]// 000000009C4C: D3F30074 1DD29592
	v_mfma_f32_16x16x32_fp8_fp8 v[116:119], a[148:149], a[76:77], v[116:119]// 000000009C54: D3F30074 1DD29994
	ds_read_b128 a[8:11], v2 offset:512                        // 000000009C5C: DBFE0200 08000002
	ds_read_b128 a[12:15], v2 offset:576                       // 000000009C64: DBFE0240 0C000002
	v_mfma_f32_16x16x32_fp8_fp8 v[116:119], a[150:151], a[78:79], v[116:119]// 000000009C6C: D3F30074 1DD29D96
	v_mfma_f32_16x16x32_fp8_fp8 v[120:123], a[144:145], a[80:81], v[120:123]// 000000009C74: D3F30078 1DE2A190
	v_mfma_f32_16x16x32_fp8_fp8 v[120:123], a[146:147], a[82:83], v[120:123]// 000000009C7C: D3F30078 1DE2A592
	v_mfma_f32_16x16x32_fp8_fp8 v[120:123], a[148:149], a[84:85], v[120:123]// 000000009C84: D3F30078 1DE2A994
	ds_read_b128 a[16:19], v2 offset:1024                      // 000000009C8C: DBFE0400 10000002
	ds_read_b128 a[20:23], v2 offset:1088                      // 000000009C94: DBFE0440 14000002
	v_mfma_f32_16x16x32_fp8_fp8 v[120:123], a[150:151], a[86:87], v[120:123]// 000000009C9C: D3F30078 1DE2AD96
	v_mfma_f32_16x16x32_fp8_fp8 v[124:127], a[144:145], a[88:89], v[124:127]// 000000009CA4: D3F3007C 1DF2B190
	v_mfma_f32_16x16x32_fp8_fp8 v[124:127], a[146:147], a[90:91], v[124:127]// 000000009CAC: D3F3007C 1DF2B592
	v_mfma_f32_16x16x32_fp8_fp8 v[124:127], a[148:149], a[92:93], v[124:127]// 000000009CB4: D3F3007C 1DF2B994
	ds_read_b128 a[24:27], v2 offset:1536                      // 000000009CBC: DBFE0600 18000002
	ds_read_b128 a[28:31], v2 offset:1600                      // 000000009CC4: DBFE0640 1C000002
	v_mfma_f32_16x16x32_fp8_fp8 v[124:127], a[150:151], a[94:95], v[124:127]// 000000009CCC: D3F3007C 1DF2BD96
	v_mfma_f32_16x16x32_fp8_fp8 v[128:131], a[144:145], a[96:97], v[128:131]// 000000009CD4: D3F30080 1E02C190
	v_mfma_f32_16x16x32_fp8_fp8 v[128:131], a[146:147], a[98:99], v[128:131]// 000000009CDC: D3F30080 1E02C592
	v_mfma_f32_16x16x32_fp8_fp8 v[128:131], a[148:149], a[100:101], v[128:131]// 000000009CE4: D3F30080 1E02C994
	ds_read_b128 a[32:35], v2 offset:2048                      // 000000009CEC: DBFE0800 20000002
	ds_read_b128 a[36:39], v2 offset:2112                      // 000000009CF4: DBFE0840 24000002
	v_mfma_f32_16x16x32_fp8_fp8 v[128:131], a[150:151], a[102:103], v[128:131]// 000000009CFC: D3F30080 1E02CD96
	v_mfma_f32_16x16x32_fp8_fp8 v[132:135], a[144:145], a[104:105], v[132:135]// 000000009D04: D3F30084 1E12D190
	v_mfma_f32_16x16x32_fp8_fp8 v[132:135], a[146:147], a[106:107], v[132:135]// 000000009D0C: D3F30084 1E12D592
	v_mfma_f32_16x16x32_fp8_fp8 v[132:135], a[148:149], a[108:109], v[132:135]// 000000009D14: D3F30084 1E12D994
	ds_read_b128 a[40:43], v2 offset:2560                      // 000000009D1C: DBFE0A00 28000002
	ds_read_b128 a[44:47], v2 offset:2624                      // 000000009D24: DBFE0A40 2C000002
	v_mfma_f32_16x16x32_fp8_fp8 v[132:135], a[150:151], a[110:111], v[132:135]// 000000009D2C: D3F30084 1E12DD96
	v_mfma_f32_16x16x32_fp8_fp8 v[136:139], a[144:145], a[112:113], v[136:139]// 000000009D34: D3F30088 1E22E190
	s_add_u32 s60, 0x180, s80                                  // 000000009D3C: 803C50FF 00000180
	s_cmp_lt_u32 s60, s81                                      // 000000009D44: BF0A513C
	s_cselect_b32 s57, s57, 0                                  // 000000009D48: 85398039
	v_mfma_f32_16x16x32_fp8_fp8 v[136:139], a[146:147], a[114:115], v[136:139]// 000000009D4C: D3F30088 1E22E592
	s_add_u32 s60, 0x100, s80                                  // 000000009D54: 803C50FF 00000100
	s_cmp_lt_u32 s60, s81                                      // 000000009D5C: BF0A513C
	s_cselect_b32 s58, s58, 0                                  // 000000009D60: 853A803A
	v_mfma_f32_16x16x32_fp8_fp8 v[136:139], a[148:149], a[116:117], v[136:139]// 000000009D64: D3F30088 1E22E994
	ds_read_b128 a[48:51], v2 offset:3072                      // 000000009D6C: DBFE0C00 30000002
	ds_read_b128 a[52:55], v2 offset:3136                      // 000000009D74: DBFE0C40 34000002
	s_add_u32 s60, 0x100, s80                                  // 000000009D7C: 803C50FF 00000100
	s_cmp_lt_u32 s60, s81                                      // 000000009D84: BF0A513C
	s_cselect_b32 s83, s83, 0                                  // 000000009D88: 85538053
	v_mfma_f32_16x16x32_fp8_fp8 v[136:139], a[150:151], a[118:119], v[136:139]// 000000009D8C: D3F30088 1E22ED96
	s_add_u32 s24, s58, s24                                    // 000000009D94: 8018183A
	s_addc_u32 s25, 0, s25                                     // 000000009D98: 82191980
	v_mfma_f32_16x16x32_fp8_fp8 v[140:143], a[144:145], a[120:121], v[140:143]// 000000009D9C: D3F3008C 1E32F190
	s_add_u32 s20, s57, s20                                    // 000000009DA4: 80141439
	s_addc_u32 s21, 0, s21                                     // 000000009DA8: 82151580
	v_mfma_f32_16x16x32_fp8_fp8 v[140:143], a[146:147], a[122:123], v[140:143]// 000000009DAC: D3F3008C 1E32F592
	s_add_u32 s84, s83, s84                                    // 000000009DB4: 80545453
	s_addc_u32 s85, 0, s85                                     // 000000009DB8: 82555580
	v_mfma_f32_16x16x32_fp8_fp8 v[140:143], a[148:149], a[124:125], v[140:143]// 000000009DBC: D3F3008C 1E32F994
	ds_read_b128 a[56:59], v2 offset:3584                      // 000000009DC4: DBFE0E00 38000002
	ds_read_b128 a[60:63], v2 offset:3648                      // 000000009DCC: DBFE0E40 3C000002
	v_mfma_f32_16x16x32_fp8_fp8 v[140:143], a[150:151], a[126:127], v[140:143]// 000000009DD4: D3F3008C 1E32FD96
	s_addk_i32 s80, 0x80                                       // 000000009DDC: B7500080
	s_cmp_lt_i32 s80, s81                                      // 000000009DE0: BF045150
	s_cbranch_scc0 label_1CFE                                  // 000000009DE4: BF840001
	s_branch label_1703                                        // 000000009DE8: BF82FA05

0000000000009dec <label_1CFE>:
	v_mul_f32_dpp v80, v24, v80 row_newbcast:0 row_mask:0xf bank_mask:0xf// 000000009DEC: 0AA0A0FA FF015018
	v_mul_f32_dpp v81, v24, v81 row_newbcast:1 row_mask:0xf bank_mask:0xf// 000000009DF4: 0AA2A2FA FF015118
	v_mul_f32_dpp v82, v24, v82 row_newbcast:2 row_mask:0xf bank_mask:0xf// 000000009DFC: 0AA4A4FA FF015218
	v_mul_f32_dpp v83, v24, v83 row_newbcast:3 row_mask:0xf bank_mask:0xf// 000000009E04: 0AA6A6FA FF015318
	v_mul_f32_dpp v84, v24, v84 row_newbcast:0 row_mask:0xf bank_mask:0xf// 000000009E0C: 0AA8A8FA FF015018
	v_mul_f32_dpp v85, v24, v85 row_newbcast:1 row_mask:0xf bank_mask:0xf// 000000009E14: 0AAAAAFA FF015118
	v_mul_f32_dpp v86, v24, v86 row_newbcast:2 row_mask:0xf bank_mask:0xf// 000000009E1C: 0AACACFA FF015218
	v_mul_f32_dpp v87, v24, v87 row_newbcast:3 row_mask:0xf bank_mask:0xf// 000000009E24: 0AAEAEFA FF015318
	v_mul_f32_dpp v88, v24, v88 row_newbcast:0 row_mask:0xf bank_mask:0xf// 000000009E2C: 0AB0B0FA FF015018
	v_mul_f32_dpp v89, v24, v89 row_newbcast:1 row_mask:0xf bank_mask:0xf// 000000009E34: 0AB2B2FA FF015118
	v_mul_f32_dpp v90, v24, v90 row_newbcast:2 row_mask:0xf bank_mask:0xf// 000000009E3C: 0AB4B4FA FF015218
	v_mul_f32_dpp v91, v24, v91 row_newbcast:3 row_mask:0xf bank_mask:0xf// 000000009E44: 0AB6B6FA FF015318
	v_mul_f32_dpp v92, v24, v92 row_newbcast:0 row_mask:0xf bank_mask:0xf// 000000009E4C: 0AB8B8FA FF015018
	v_mul_f32_dpp v93, v24, v93 row_newbcast:1 row_mask:0xf bank_mask:0xf// 000000009E54: 0ABABAFA FF015118
	v_mul_f32_dpp v94, v24, v94 row_newbcast:2 row_mask:0xf bank_mask:0xf// 000000009E5C: 0ABCBCFA FF015218
	v_mul_f32_dpp v95, v24, v95 row_newbcast:3 row_mask:0xf bank_mask:0xf// 000000009E64: 0ABEBEFA FF015318
	v_mul_f32_dpp v96, v24, v96 row_newbcast:0 row_mask:0xf bank_mask:0xf// 000000009E6C: 0AC0C0FA FF015018
	v_mul_f32_dpp v97, v24, v97 row_newbcast:1 row_mask:0xf bank_mask:0xf// 000000009E74: 0AC2C2FA FF015118
	v_mul_f32_dpp v98, v24, v98 row_newbcast:2 row_mask:0xf bank_mask:0xf// 000000009E7C: 0AC4C4FA FF015218
	v_mul_f32_dpp v99, v24, v99 row_newbcast:3 row_mask:0xf bank_mask:0xf// 000000009E84: 0AC6C6FA FF015318
	v_mul_f32_dpp v100, v24, v100 row_newbcast:0 row_mask:0xf bank_mask:0xf// 000000009E8C: 0AC8C8FA FF015018
	v_mul_f32_dpp v101, v24, v101 row_newbcast:1 row_mask:0xf bank_mask:0xf// 000000009E94: 0ACACAFA FF015118
	v_mul_f32_dpp v102, v24, v102 row_newbcast:2 row_mask:0xf bank_mask:0xf// 000000009E9C: 0ACCCCFA FF015218
	v_mul_f32_dpp v103, v24, v103 row_newbcast:3 row_mask:0xf bank_mask:0xf// 000000009EA4: 0ACECEFA FF015318
	v_mul_f32_dpp v104, v24, v104 row_newbcast:0 row_mask:0xf bank_mask:0xf// 000000009EAC: 0AD0D0FA FF015018
	v_mul_f32_dpp v105, v24, v105 row_newbcast:1 row_mask:0xf bank_mask:0xf// 000000009EB4: 0AD2D2FA FF015118
	v_mul_f32_dpp v106, v24, v106 row_newbcast:2 row_mask:0xf bank_mask:0xf// 000000009EBC: 0AD4D4FA FF015218
	v_mul_f32_dpp v107, v24, v107 row_newbcast:3 row_mask:0xf bank_mask:0xf// 000000009EC4: 0AD6D6FA FF015318
	v_mul_f32_dpp v108, v24, v108 row_newbcast:0 row_mask:0xf bank_mask:0xf// 000000009ECC: 0AD8D8FA FF015018
	v_mul_f32_dpp v109, v24, v109 row_newbcast:1 row_mask:0xf bank_mask:0xf// 000000009ED4: 0ADADAFA FF015118
	v_mul_f32_dpp v110, v24, v110 row_newbcast:2 row_mask:0xf bank_mask:0xf// 000000009EDC: 0ADCDCFA FF015218
	v_mul_f32_dpp v111, v24, v111 row_newbcast:3 row_mask:0xf bank_mask:0xf// 000000009EE4: 0ADEDEFA FF015318
	v_mul_f32_dpp v112, v27, v112 row_newbcast:0 row_mask:0xf bank_mask:0xf// 000000009EEC: 0AE0E0FA FF01501B
	v_mul_f32_dpp v113, v27, v113 row_newbcast:1 row_mask:0xf bank_mask:0xf// 000000009EF4: 0AE2E2FA FF01511B
	v_mul_f32_dpp v114, v27, v114 row_newbcast:2 row_mask:0xf bank_mask:0xf// 000000009EFC: 0AE4E4FA FF01521B
	v_mul_f32_dpp v115, v27, v115 row_newbcast:3 row_mask:0xf bank_mask:0xf// 000000009F04: 0AE6E6FA FF01531B
	v_mul_f32_dpp v116, v27, v116 row_newbcast:0 row_mask:0xf bank_mask:0xf// 000000009F0C: 0AE8E8FA FF01501B
	v_mul_f32_dpp v117, v27, v117 row_newbcast:1 row_mask:0xf bank_mask:0xf// 000000009F14: 0AEAEAFA FF01511B
	v_mul_f32_dpp v118, v27, v118 row_newbcast:2 row_mask:0xf bank_mask:0xf// 000000009F1C: 0AECECFA FF01521B
	v_mul_f32_dpp v119, v27, v119 row_newbcast:3 row_mask:0xf bank_mask:0xf// 000000009F24: 0AEEEEFA FF01531B
	v_mul_f32_dpp v120, v27, v120 row_newbcast:0 row_mask:0xf bank_mask:0xf// 000000009F2C: 0AF0F0FA FF01501B
	v_mul_f32_dpp v121, v27, v121 row_newbcast:1 row_mask:0xf bank_mask:0xf// 000000009F34: 0AF2F2FA FF01511B
	v_mul_f32_dpp v122, v27, v122 row_newbcast:2 row_mask:0xf bank_mask:0xf// 000000009F3C: 0AF4F4FA FF01521B
	v_mul_f32_dpp v123, v27, v123 row_newbcast:3 row_mask:0xf bank_mask:0xf// 000000009F44: 0AF6F6FA FF01531B
	v_mul_f32_dpp v124, v27, v124 row_newbcast:0 row_mask:0xf bank_mask:0xf// 000000009F4C: 0AF8F8FA FF01501B
	v_mul_f32_dpp v125, v27, v125 row_newbcast:1 row_mask:0xf bank_mask:0xf// 000000009F54: 0AFAFAFA FF01511B
	v_mul_f32_dpp v126, v27, v126 row_newbcast:2 row_mask:0xf bank_mask:0xf// 000000009F5C: 0AFCFCFA FF01521B
	v_mul_f32_dpp v127, v27, v127 row_newbcast:3 row_mask:0xf bank_mask:0xf// 000000009F64: 0AFEFEFA FF01531B
	v_mul_f32_dpp v128, v27, v128 row_newbcast:0 row_mask:0xf bank_mask:0xf// 000000009F6C: 0B0100FA FF01501B
	v_mul_f32_dpp v129, v27, v129 row_newbcast:1 row_mask:0xf bank_mask:0xf// 000000009F74: 0B0302FA FF01511B
	v_mul_f32_dpp v130, v27, v130 row_newbcast:2 row_mask:0xf bank_mask:0xf// 000000009F7C: 0B0504FA FF01521B
	v_mul_f32_dpp v131, v27, v131 row_newbcast:3 row_mask:0xf bank_mask:0xf// 000000009F84: 0B0706FA FF01531B
	v_mul_f32_dpp v132, v27, v132 row_newbcast:0 row_mask:0xf bank_mask:0xf// 000000009F8C: 0B0908FA FF01501B
	v_mul_f32_dpp v133, v27, v133 row_newbcast:1 row_mask:0xf bank_mask:0xf// 000000009F94: 0B0B0AFA FF01511B
	v_mul_f32_dpp v134, v27, v134 row_newbcast:2 row_mask:0xf bank_mask:0xf// 000000009F9C: 0B0D0CFA FF01521B
	v_mul_f32_dpp v135, v27, v135 row_newbcast:3 row_mask:0xf bank_mask:0xf// 000000009FA4: 0B0F0EFA FF01531B
	v_mul_f32_dpp v136, v27, v136 row_newbcast:0 row_mask:0xf bank_mask:0xf// 000000009FAC: 0B1110FA FF01501B
	v_mul_f32_dpp v137, v27, v137 row_newbcast:1 row_mask:0xf bank_mask:0xf// 000000009FB4: 0B1312FA FF01511B
	v_mul_f32_dpp v138, v27, v138 row_newbcast:2 row_mask:0xf bank_mask:0xf// 000000009FBC: 0B1514FA FF01521B
	v_mul_f32_dpp v139, v27, v139 row_newbcast:3 row_mask:0xf bank_mask:0xf// 000000009FC4: 0B1716FA FF01531B
	v_mul_f32_dpp v140, v27, v140 row_newbcast:0 row_mask:0xf bank_mask:0xf// 000000009FCC: 0B1918FA FF01501B
	v_mul_f32_dpp v141, v27, v141 row_newbcast:1 row_mask:0xf bank_mask:0xf// 000000009FD4: 0B1B1AFA FF01511B
	v_mul_f32_dpp v142, v27, v142 row_newbcast:2 row_mask:0xf bank_mask:0xf// 000000009FDC: 0B1D1CFA FF01521B
	v_mul_f32_dpp v143, v27, v143 row_newbcast:3 row_mask:0xf bank_mask:0xf// 000000009FE4: 0B1F1EFA FF01531B
	v_mul_f32_e32 v38, v38, v144                               // 000000009FEC: 0A4D2126
	v_mov_b32_e32 v4, v38                                      // 000000009FF0: 7E080326
	v_mov_b32_e32 v5, v4                                       // 000000009FF4: 7E0A0304
	v_pk_mul_f32 v[80:81], v[4:5], v[80:81]                    // 000000009FF8: D3B14050 1802A104
	v_pk_mul_f32 v[112:113], v[4:5], v[112:113]                // 00000000A000: D3B14070 1802E104
	v_pk_mul_f32 v[82:83], v[4:5], v[82:83]                    // 00000000A008: D3B14052 1802A504
	v_pk_mul_f32 v[114:115], v[4:5], v[114:115]                // 00000000A010: D3B14072 1802E504
	v_mul_f32_e32 v39, v39, v145                               // 00000000A018: 0A4F2327
	v_mov_b32_e32 v4, v39                                      // 00000000A01C: 7E080327
	v_mov_b32_e32 v5, v4                                       // 00000000A020: 7E0A0304
	v_pk_mul_f32 v[84:85], v[4:5], v[84:85]                    // 00000000A024: D3B14054 1802A904
	v_pk_mul_f32 v[116:117], v[4:5], v[116:117]                // 00000000A02C: D3B14074 1802E904
	v_pk_mul_f32 v[86:87], v[4:5], v[86:87]                    // 00000000A034: D3B14056 1802AD04
	v_pk_mul_f32 v[118:119], v[4:5], v[118:119]                // 00000000A03C: D3B14076 1802ED04
	v_mul_f32_e32 v40, v40, v146                               // 00000000A044: 0A512528
	v_mov_b32_e32 v4, v40                                      // 00000000A048: 7E080328
	v_mov_b32_e32 v5, v4                                       // 00000000A04C: 7E0A0304
	v_pk_mul_f32 v[88:89], v[4:5], v[88:89]                    // 00000000A050: D3B14058 1802B104
	v_pk_mul_f32 v[120:121], v[4:5], v[120:121]                // 00000000A058: D3B14078 1802F104
	v_pk_mul_f32 v[90:91], v[4:5], v[90:91]                    // 00000000A060: D3B1405A 1802B504
	v_pk_mul_f32 v[122:123], v[4:5], v[122:123]                // 00000000A068: D3B1407A 1802F504
	v_mul_f32_e32 v41, v41, v147                               // 00000000A070: 0A532729
	v_mov_b32_e32 v4, v41                                      // 00000000A074: 7E080329
	v_mov_b32_e32 v5, v4                                       // 00000000A078: 7E0A0304
	v_pk_mul_f32 v[92:93], v[4:5], v[92:93]                    // 00000000A07C: D3B1405C 1802B904
	v_pk_mul_f32 v[124:125], v[4:5], v[124:125]                // 00000000A084: D3B1407C 1802F904
	v_pk_mul_f32 v[94:95], v[4:5], v[94:95]                    // 00000000A08C: D3B1405E 1802BD04
	v_pk_mul_f32 v[126:127], v[4:5], v[126:127]                // 00000000A094: D3B1407E 1802FD04
	v_mul_f32_e32 v42, v42, v148                               // 00000000A09C: 0A55292A
	v_mov_b32_e32 v4, v42                                      // 00000000A0A0: 7E08032A
	v_mov_b32_e32 v5, v4                                       // 00000000A0A4: 7E0A0304
	v_pk_mul_f32 v[96:97], v[4:5], v[96:97]                    // 00000000A0A8: D3B14060 1802C104
	v_pk_mul_f32 v[128:129], v[4:5], v[128:129]                // 00000000A0B0: D3B14080 18030104
	v_pk_mul_f32 v[98:99], v[4:5], v[98:99]                    // 00000000A0B8: D3B14062 1802C504
	v_pk_mul_f32 v[130:131], v[4:5], v[130:131]                // 00000000A0C0: D3B14082 18030504
	v_mul_f32_e32 v43, v43, v149                               // 00000000A0C8: 0A572B2B
	v_mov_b32_e32 v4, v43                                      // 00000000A0CC: 7E08032B
	v_mov_b32_e32 v5, v4                                       // 00000000A0D0: 7E0A0304
	v_pk_mul_f32 v[100:101], v[4:5], v[100:101]                // 00000000A0D4: D3B14064 1802C904
	v_pk_mul_f32 v[132:133], v[4:5], v[132:133]                // 00000000A0DC: D3B14084 18030904
	v_pk_mul_f32 v[102:103], v[4:5], v[102:103]                // 00000000A0E4: D3B14066 1802CD04
	v_pk_mul_f32 v[134:135], v[4:5], v[134:135]                // 00000000A0EC: D3B14086 18030D04
	v_mul_f32_e32 v44, v44, v150                               // 00000000A0F4: 0A592D2C
	v_mov_b32_e32 v4, v44                                      // 00000000A0F8: 7E08032C
	v_mov_b32_e32 v5, v4                                       // 00000000A0FC: 7E0A0304
	v_pk_mul_f32 v[104:105], v[4:5], v[104:105]                // 00000000A100: D3B14068 1802D104
	v_pk_mul_f32 v[136:137], v[4:5], v[136:137]                // 00000000A108: D3B14088 18031104
	v_pk_mul_f32 v[106:107], v[4:5], v[106:107]                // 00000000A110: D3B1406A 1802D504
	v_pk_mul_f32 v[138:139], v[4:5], v[138:139]                // 00000000A118: D3B1408A 18031504
	v_mul_f32_e32 v45, v45, v151                               // 00000000A120: 0A5B2F2D
	v_mov_b32_e32 v4, v45                                      // 00000000A124: 7E08032D
	v_mov_b32_e32 v5, v4                                       // 00000000A128: 7E0A0304
	v_pk_mul_f32 v[108:109], v[4:5], v[108:109]                // 00000000A12C: D3B1406C 1802D904
	v_pk_mul_f32 v[140:141], v[4:5], v[140:141]                // 00000000A134: D3B1408C 18031904
	v_pk_mul_f32 v[110:111], v[4:5], v[110:111]                // 00000000A13C: D3B1406E 1802DD04
	v_pk_mul_f32 v[142:143], v[4:5], v[142:143]                // 00000000A144: D3B1408E 18031D04
	s_cmp_eq_u32 s88, 0                                        // 00000000A14C: BF068058
	s_cbranch_scc0 label_23C9                                  // 00000000A150: BF8405F1
	s_cmp_eq_u32 s89, 0                                        // 00000000A154: BF068059
	s_cbranch_scc1 label_1F1F                                  // 00000000A158: BF850145
	v_mov_b32_e32 v8, v1                                       // 00000000A15C: 7E100301
	v_mov_b32_e32 v9, v1                                       // 00000000A160: 7E120301
	s_mov_b32 s60, s6                                          // 00000000A164: BEBC0006
	s_mov_b32 s61, s6                                          // 00000000A168: BEBD0006
	v_pk_mul_f32 v[4:5], v[80:81], v[80:81]                    // 00000000A16C: D3B14004 1802A150
	v_pk_mul_f32 v[6:7], v[82:83], v[82:83]                    // 00000000A174: D3B14006 1802A552
	v_pk_fma_f32 v[4:5], v[4:5], s[78:79], v[8:9]              // 00000000A17C: D3B04004 1C209D04
	v_pk_fma_f32 v[6:7], v[6:7], s[78:79], v[8:9]              // 00000000A184: D3B04006 1C209D06
	v_pk_mul_f32 v[4:5], v[4:5], v[80:81]                      // 00000000A18C: D3B14004 1802A104
	v_pk_mul_f32 v[6:7], v[6:7], v[82:83]                      // 00000000A194: D3B14006 1802A506
	v_pk_mul_f32 v[4:5], v[4:5], s[60:61]                      // 00000000A19C: D3B14004 18007904
	v_pk_mul_f32 v[6:7], v[6:7], s[60:61]                      // 00000000A1A4: D3B14006 18007906
	v_exp_f32_e32 v4, v4                                       // 00000000A1AC: 7E084104
	v_exp_f32_e32 v5, v5                                       // 00000000A1B0: 7E0A4105
	v_exp_f32_e32 v6, v6                                       // 00000000A1B4: 7E0C4106
	v_exp_f32_e32 v7, v7                                       // 00000000A1B8: 7E0E4107
	v_add_f32_e64 v4, v4, 1.0                                  // 00000000A1BC: D1010004 0001E504
	v_add_f32_e64 v5, v5, 1.0                                  // 00000000A1C4: D1010005 0001E505
	v_add_f32_e64 v6, v6, 1.0                                  // 00000000A1CC: D1010006 0001E506
	v_add_f32_e64 v7, v7, 1.0                                  // 00000000A1D4: D1010007 0001E507
	v_rcp_f32_e32 v4, v4                                       // 00000000A1DC: 7E084504
	v_rcp_f32_e32 v5, v5                                       // 00000000A1E0: 7E0A4505
	v_rcp_f32_e32 v6, v6                                       // 00000000A1E4: 7E0C4506
	v_rcp_f32_e32 v7, v7                                       // 00000000A1E8: 7E0E4507
	v_mul_f32_e32 v80, v80, v4                                 // 00000000A1EC: 0AA00950
	v_mul_f32_e32 v81, v81, v5                                 // 00000000A1F0: 0AA20B51
	v_mul_f32_e32 v82, v82, v6                                 // 00000000A1F4: 0AA40D52
	v_mul_f32_e32 v83, v83, v7                                 // 00000000A1F8: 0AA60F53
	v_mul_f32_e32 v80, v80, v112                               // 00000000A1FC: 0AA0E150
	v_mul_f32_e32 v81, v81, v113                               // 00000000A200: 0AA2E351
	v_mul_f32_e32 v82, v82, v114                               // 00000000A204: 0AA4E552
	v_mul_f32_e32 v83, v83, v115                               // 00000000A208: 0AA6E753
	v_pk_mul_f32 v[4:5], v[84:85], v[84:85]                    // 00000000A20C: D3B14004 1802A954
	v_pk_mul_f32 v[6:7], v[86:87], v[86:87]                    // 00000000A214: D3B14006 1802AD56
	v_pk_fma_f32 v[4:5], v[4:5], s[78:79], v[8:9]              // 00000000A21C: D3B04004 1C209D04
	v_pk_fma_f32 v[6:7], v[6:7], s[78:79], v[8:9]              // 00000000A224: D3B04006 1C209D06
	v_pk_mul_f32 v[4:5], v[4:5], v[84:85]                      // 00000000A22C: D3B14004 1802A904
	v_pk_mul_f32 v[6:7], v[6:7], v[86:87]                      // 00000000A234: D3B14006 1802AD06
	v_pk_mul_f32 v[4:5], v[4:5], s[60:61]                      // 00000000A23C: D3B14004 18007904
	v_pk_mul_f32 v[6:7], v[6:7], s[60:61]                      // 00000000A244: D3B14006 18007906
	v_exp_f32_e32 v4, v4                                       // 00000000A24C: 7E084104
	v_exp_f32_e32 v5, v5                                       // 00000000A250: 7E0A4105
	v_exp_f32_e32 v6, v6                                       // 00000000A254: 7E0C4106
	v_exp_f32_e32 v7, v7                                       // 00000000A258: 7E0E4107
	v_add_f32_e64 v4, v4, 1.0                                  // 00000000A25C: D1010004 0001E504
	v_add_f32_e64 v5, v5, 1.0                                  // 00000000A264: D1010005 0001E505
	v_add_f32_e64 v6, v6, 1.0                                  // 00000000A26C: D1010006 0001E506
	v_add_f32_e64 v7, v7, 1.0                                  // 00000000A274: D1010007 0001E507
	v_rcp_f32_e32 v4, v4                                       // 00000000A27C: 7E084504
	v_rcp_f32_e32 v5, v5                                       // 00000000A280: 7E0A4505
	v_rcp_f32_e32 v6, v6                                       // 00000000A284: 7E0C4506
	v_rcp_f32_e32 v7, v7                                       // 00000000A288: 7E0E4507
	v_mul_f32_e32 v84, v84, v4                                 // 00000000A28C: 0AA80954
	v_mul_f32_e32 v85, v85, v5                                 // 00000000A290: 0AAA0B55
	v_mul_f32_e32 v86, v86, v6                                 // 00000000A294: 0AAC0D56
	v_mul_f32_e32 v87, v87, v7                                 // 00000000A298: 0AAE0F57
	v_mul_f32_e32 v84, v84, v116                               // 00000000A29C: 0AA8E954
	v_mul_f32_e32 v85, v85, v117                               // 00000000A2A0: 0AAAEB55
	v_mul_f32_e32 v86, v86, v118                               // 00000000A2A4: 0AACED56
	v_mul_f32_e32 v87, v87, v119                               // 00000000A2A8: 0AAEEF57
	v_pk_mul_f32 v[4:5], v[88:89], v[88:89]                    // 00000000A2AC: D3B14004 1802B158
	v_pk_mul_f32 v[6:7], v[90:91], v[90:91]                    // 00000000A2B4: D3B14006 1802B55A
	v_pk_fma_f32 v[4:5], v[4:5], s[78:79], v[8:9]              // 00000000A2BC: D3B04004 1C209D04
	v_pk_fma_f32 v[6:7], v[6:7], s[78:79], v[8:9]              // 00000000A2C4: D3B04006 1C209D06
	v_pk_mul_f32 v[4:5], v[4:5], v[88:89]                      // 00000000A2CC: D3B14004 1802B104
	v_pk_mul_f32 v[6:7], v[6:7], v[90:91]                      // 00000000A2D4: D3B14006 1802B506
	v_pk_mul_f32 v[4:5], v[4:5], s[60:61]                      // 00000000A2DC: D3B14004 18007904
	v_pk_mul_f32 v[6:7], v[6:7], s[60:61]                      // 00000000A2E4: D3B14006 18007906
	v_exp_f32_e32 v4, v4                                       // 00000000A2EC: 7E084104
	v_exp_f32_e32 v5, v5                                       // 00000000A2F0: 7E0A4105
	v_exp_f32_e32 v6, v6                                       // 00000000A2F4: 7E0C4106
	v_exp_f32_e32 v7, v7                                       // 00000000A2F8: 7E0E4107
	v_add_f32_e64 v4, v4, 1.0                                  // 00000000A2FC: D1010004 0001E504
	v_add_f32_e64 v5, v5, 1.0                                  // 00000000A304: D1010005 0001E505
	v_add_f32_e64 v6, v6, 1.0                                  // 00000000A30C: D1010006 0001E506
	v_add_f32_e64 v7, v7, 1.0                                  // 00000000A314: D1010007 0001E507
	v_rcp_f32_e32 v4, v4                                       // 00000000A31C: 7E084504
	v_rcp_f32_e32 v5, v5                                       // 00000000A320: 7E0A4505
	v_rcp_f32_e32 v6, v6                                       // 00000000A324: 7E0C4506
	v_rcp_f32_e32 v7, v7                                       // 00000000A328: 7E0E4507
	v_mul_f32_e32 v88, v88, v4                                 // 00000000A32C: 0AB00958
	v_mul_f32_e32 v89, v89, v5                                 // 00000000A330: 0AB20B59
	v_mul_f32_e32 v90, v90, v6                                 // 00000000A334: 0AB40D5A
	v_mul_f32_e32 v91, v91, v7                                 // 00000000A338: 0AB60F5B
	v_mul_f32_e32 v88, v88, v120                               // 00000000A33C: 0AB0F158
	v_mul_f32_e32 v89, v89, v121                               // 00000000A340: 0AB2F359
	v_mul_f32_e32 v90, v90, v122                               // 00000000A344: 0AB4F55A
	v_mul_f32_e32 v91, v91, v123                               // 00000000A348: 0AB6F75B
	v_pk_mul_f32 v[4:5], v[92:93], v[92:93]                    // 00000000A34C: D3B14004 1802B95C
	v_pk_mul_f32 v[6:7], v[94:95], v[94:95]                    // 00000000A354: D3B14006 1802BD5E
	v_pk_fma_f32 v[4:5], v[4:5], s[78:79], v[8:9]              // 00000000A35C: D3B04004 1C209D04
	v_pk_fma_f32 v[6:7], v[6:7], s[78:79], v[8:9]              // 00000000A364: D3B04006 1C209D06
	v_pk_mul_f32 v[4:5], v[4:5], v[92:93]                      // 00000000A36C: D3B14004 1802B904
	v_pk_mul_f32 v[6:7], v[6:7], v[94:95]                      // 00000000A374: D3B14006 1802BD06
	v_pk_mul_f32 v[4:5], v[4:5], s[60:61]                      // 00000000A37C: D3B14004 18007904
	v_pk_mul_f32 v[6:7], v[6:7], s[60:61]                      // 00000000A384: D3B14006 18007906
	v_exp_f32_e32 v4, v4                                       // 00000000A38C: 7E084104
	v_exp_f32_e32 v5, v5                                       // 00000000A390: 7E0A4105
	v_exp_f32_e32 v6, v6                                       // 00000000A394: 7E0C4106
	v_exp_f32_e32 v7, v7                                       // 00000000A398: 7E0E4107
	v_add_f32_e64 v4, v4, 1.0                                  // 00000000A39C: D1010004 0001E504
	v_add_f32_e64 v5, v5, 1.0                                  // 00000000A3A4: D1010005 0001E505
	v_add_f32_e64 v6, v6, 1.0                                  // 00000000A3AC: D1010006 0001E506
	v_add_f32_e64 v7, v7, 1.0                                  // 00000000A3B4: D1010007 0001E507
	v_rcp_f32_e32 v4, v4                                       // 00000000A3BC: 7E084504
	v_rcp_f32_e32 v5, v5                                       // 00000000A3C0: 7E0A4505
	v_rcp_f32_e32 v6, v6                                       // 00000000A3C4: 7E0C4506
	v_rcp_f32_e32 v7, v7                                       // 00000000A3C8: 7E0E4507
	v_mul_f32_e32 v92, v92, v4                                 // 00000000A3CC: 0AB8095C
	v_mul_f32_e32 v93, v93, v5                                 // 00000000A3D0: 0ABA0B5D
	v_mul_f32_e32 v94, v94, v6                                 // 00000000A3D4: 0ABC0D5E
	v_mul_f32_e32 v95, v95, v7                                 // 00000000A3D8: 0ABE0F5F
	v_mul_f32_e32 v92, v92, v124                               // 00000000A3DC: 0AB8F95C
	v_mul_f32_e32 v93, v93, v125                               // 00000000A3E0: 0ABAFB5D
	v_mul_f32_e32 v94, v94, v126                               // 00000000A3E4: 0ABCFD5E
	v_mul_f32_e32 v95, v95, v127                               // 00000000A3E8: 0ABEFF5F
	v_pk_mul_f32 v[4:5], v[96:97], v[96:97]                    // 00000000A3EC: D3B14004 1802C160
	v_pk_mul_f32 v[6:7], v[98:99], v[98:99]                    // 00000000A3F4: D3B14006 1802C562
	v_pk_fma_f32 v[4:5], v[4:5], s[78:79], v[8:9]              // 00000000A3FC: D3B04004 1C209D04
	v_pk_fma_f32 v[6:7], v[6:7], s[78:79], v[8:9]              // 00000000A404: D3B04006 1C209D06
	v_pk_mul_f32 v[4:5], v[4:5], v[96:97]                      // 00000000A40C: D3B14004 1802C104
	v_pk_mul_f32 v[6:7], v[6:7], v[98:99]                      // 00000000A414: D3B14006 1802C506
	v_pk_mul_f32 v[4:5], v[4:5], s[60:61]                      // 00000000A41C: D3B14004 18007904
	v_pk_mul_f32 v[6:7], v[6:7], s[60:61]                      // 00000000A424: D3B14006 18007906
	v_exp_f32_e32 v4, v4                                       // 00000000A42C: 7E084104
	v_exp_f32_e32 v5, v5                                       // 00000000A430: 7E0A4105
	v_exp_f32_e32 v6, v6                                       // 00000000A434: 7E0C4106
	v_exp_f32_e32 v7, v7                                       // 00000000A438: 7E0E4107
	v_add_f32_e64 v4, v4, 1.0                                  // 00000000A43C: D1010004 0001E504
	v_add_f32_e64 v5, v5, 1.0                                  // 00000000A444: D1010005 0001E505
	v_add_f32_e64 v6, v6, 1.0                                  // 00000000A44C: D1010006 0001E506
	v_add_f32_e64 v7, v7, 1.0                                  // 00000000A454: D1010007 0001E507
	v_rcp_f32_e32 v4, v4                                       // 00000000A45C: 7E084504
	v_rcp_f32_e32 v5, v5                                       // 00000000A460: 7E0A4505
	v_rcp_f32_e32 v6, v6                                       // 00000000A464: 7E0C4506
	v_rcp_f32_e32 v7, v7                                       // 00000000A468: 7E0E4507
	v_mul_f32_e32 v96, v96, v4                                 // 00000000A46C: 0AC00960
	v_mul_f32_e32 v97, v97, v5                                 // 00000000A470: 0AC20B61
	v_mul_f32_e32 v98, v98, v6                                 // 00000000A474: 0AC40D62
	v_mul_f32_e32 v99, v99, v7                                 // 00000000A478: 0AC60F63
	v_mul_f32_e32 v96, v96, v128                               // 00000000A47C: 0AC10160
	v_mul_f32_e32 v97, v97, v129                               // 00000000A480: 0AC30361
	v_mul_f32_e32 v98, v98, v130                               // 00000000A484: 0AC50562
	v_mul_f32_e32 v99, v99, v131                               // 00000000A488: 0AC70763
	v_pk_mul_f32 v[4:5], v[100:101], v[100:101]                // 00000000A48C: D3B14004 1802C964
	v_pk_mul_f32 v[6:7], v[102:103], v[102:103]                // 00000000A494: D3B14006 1802CD66
	v_pk_fma_f32 v[4:5], v[4:5], s[78:79], v[8:9]              // 00000000A49C: D3B04004 1C209D04
	v_pk_fma_f32 v[6:7], v[6:7], s[78:79], v[8:9]              // 00000000A4A4: D3B04006 1C209D06
	v_pk_mul_f32 v[4:5], v[4:5], v[100:101]                    // 00000000A4AC: D3B14004 1802C904
	v_pk_mul_f32 v[6:7], v[6:7], v[102:103]                    // 00000000A4B4: D3B14006 1802CD06
	v_pk_mul_f32 v[4:5], v[4:5], s[60:61]                      // 00000000A4BC: D3B14004 18007904
	v_pk_mul_f32 v[6:7], v[6:7], s[60:61]                      // 00000000A4C4: D3B14006 18007906
	v_exp_f32_e32 v4, v4                                       // 00000000A4CC: 7E084104
	v_exp_f32_e32 v5, v5                                       // 00000000A4D0: 7E0A4105
	v_exp_f32_e32 v6, v6                                       // 00000000A4D4: 7E0C4106
	v_exp_f32_e32 v7, v7                                       // 00000000A4D8: 7E0E4107
	v_add_f32_e64 v4, v4, 1.0                                  // 00000000A4DC: D1010004 0001E504
	v_add_f32_e64 v5, v5, 1.0                                  // 00000000A4E4: D1010005 0001E505
	v_add_f32_e64 v6, v6, 1.0                                  // 00000000A4EC: D1010006 0001E506
	v_add_f32_e64 v7, v7, 1.0                                  // 00000000A4F4: D1010007 0001E507
	v_rcp_f32_e32 v4, v4                                       // 00000000A4FC: 7E084504
	v_rcp_f32_e32 v5, v5                                       // 00000000A500: 7E0A4505
	v_rcp_f32_e32 v6, v6                                       // 00000000A504: 7E0C4506
	v_rcp_f32_e32 v7, v7                                       // 00000000A508: 7E0E4507
	v_mul_f32_e32 v100, v100, v4                               // 00000000A50C: 0AC80964
	v_mul_f32_e32 v101, v101, v5                               // 00000000A510: 0ACA0B65
	v_mul_f32_e32 v102, v102, v6                               // 00000000A514: 0ACC0D66
	v_mul_f32_e32 v103, v103, v7                               // 00000000A518: 0ACE0F67
	v_mul_f32_e32 v100, v100, v132                             // 00000000A51C: 0AC90964
	v_mul_f32_e32 v101, v101, v133                             // 00000000A520: 0ACB0B65
	v_mul_f32_e32 v102, v102, v134                             // 00000000A524: 0ACD0D66
	v_mul_f32_e32 v103, v103, v135                             // 00000000A528: 0ACF0F67
	v_pk_mul_f32 v[4:5], v[104:105], v[104:105]                // 00000000A52C: D3B14004 1802D168
	v_pk_mul_f32 v[6:7], v[106:107], v[106:107]                // 00000000A534: D3B14006 1802D56A
	v_pk_fma_f32 v[4:5], v[4:5], s[78:79], v[8:9]              // 00000000A53C: D3B04004 1C209D04
	v_pk_fma_f32 v[6:7], v[6:7], s[78:79], v[8:9]              // 00000000A544: D3B04006 1C209D06
	v_pk_mul_f32 v[4:5], v[4:5], v[104:105]                    // 00000000A54C: D3B14004 1802D104
	v_pk_mul_f32 v[6:7], v[6:7], v[106:107]                    // 00000000A554: D3B14006 1802D506
	v_pk_mul_f32 v[4:5], v[4:5], s[60:61]                      // 00000000A55C: D3B14004 18007904
	v_pk_mul_f32 v[6:7], v[6:7], s[60:61]                      // 00000000A564: D3B14006 18007906
	v_exp_f32_e32 v4, v4                                       // 00000000A56C: 7E084104
	v_exp_f32_e32 v5, v5                                       // 00000000A570: 7E0A4105
	v_exp_f32_e32 v6, v6                                       // 00000000A574: 7E0C4106
	v_exp_f32_e32 v7, v7                                       // 00000000A578: 7E0E4107
	v_add_f32_e64 v4, v4, 1.0                                  // 00000000A57C: D1010004 0001E504
	v_add_f32_e64 v5, v5, 1.0                                  // 00000000A584: D1010005 0001E505
	v_add_f32_e64 v6, v6, 1.0                                  // 00000000A58C: D1010006 0001E506
	v_add_f32_e64 v7, v7, 1.0                                  // 00000000A594: D1010007 0001E507
	v_rcp_f32_e32 v4, v4                                       // 00000000A59C: 7E084504
	v_rcp_f32_e32 v5, v5                                       // 00000000A5A0: 7E0A4505
	v_rcp_f32_e32 v6, v6                                       // 00000000A5A4: 7E0C4506
	v_rcp_f32_e32 v7, v7                                       // 00000000A5A8: 7E0E4507
	v_mul_f32_e32 v104, v104, v4                               // 00000000A5AC: 0AD00968
	v_mul_f32_e32 v105, v105, v5                               // 00000000A5B0: 0AD20B69
	v_mul_f32_e32 v106, v106, v6                               // 00000000A5B4: 0AD40D6A
	v_mul_f32_e32 v107, v107, v7                               // 00000000A5B8: 0AD60F6B
	v_mul_f32_e32 v104, v104, v136                             // 00000000A5BC: 0AD11168
	v_mul_f32_e32 v105, v105, v137                             // 00000000A5C0: 0AD31369
	v_mul_f32_e32 v106, v106, v138                             // 00000000A5C4: 0AD5156A
	v_mul_f32_e32 v107, v107, v139                             // 00000000A5C8: 0AD7176B
	v_pk_mul_f32 v[4:5], v[108:109], v[108:109]                // 00000000A5CC: D3B14004 1802D96C
	v_pk_mul_f32 v[6:7], v[110:111], v[110:111]                // 00000000A5D4: D3B14006 1802DD6E
	v_pk_fma_f32 v[4:5], v[4:5], s[78:79], v[8:9]              // 00000000A5DC: D3B04004 1C209D04
	v_pk_fma_f32 v[6:7], v[6:7], s[78:79], v[8:9]              // 00000000A5E4: D3B04006 1C209D06
	v_pk_mul_f32 v[4:5], v[4:5], v[108:109]                    // 00000000A5EC: D3B14004 1802D904
	v_pk_mul_f32 v[6:7], v[6:7], v[110:111]                    // 00000000A5F4: D3B14006 1802DD06
	v_pk_mul_f32 v[4:5], v[4:5], s[60:61]                      // 00000000A5FC: D3B14004 18007904
	v_pk_mul_f32 v[6:7], v[6:7], s[60:61]                      // 00000000A604: D3B14006 18007906
	v_exp_f32_e32 v4, v4                                       // 00000000A60C: 7E084104
	v_exp_f32_e32 v5, v5                                       // 00000000A610: 7E0A4105
	v_exp_f32_e32 v6, v6                                       // 00000000A614: 7E0C4106
	v_exp_f32_e32 v7, v7                                       // 00000000A618: 7E0E4107
	v_add_f32_e64 v4, v4, 1.0                                  // 00000000A61C: D1010004 0001E504
	v_add_f32_e64 v5, v5, 1.0                                  // 00000000A624: D1010005 0001E505
	v_add_f32_e64 v6, v6, 1.0                                  // 00000000A62C: D1010006 0001E506
	v_add_f32_e64 v7, v7, 1.0                                  // 00000000A634: D1010007 0001E507
	v_rcp_f32_e32 v4, v4                                       // 00000000A63C: 7E084504
	v_rcp_f32_e32 v5, v5                                       // 00000000A640: 7E0A4505
	v_rcp_f32_e32 v6, v6                                       // 00000000A644: 7E0C4506
	v_rcp_f32_e32 v7, v7                                       // 00000000A648: 7E0E4507
	v_mul_f32_e32 v108, v108, v4                               // 00000000A64C: 0AD8096C
	v_mul_f32_e32 v109, v109, v5                               // 00000000A650: 0ADA0B6D
	v_mul_f32_e32 v110, v110, v6                               // 00000000A654: 0ADC0D6E
	v_mul_f32_e32 v111, v111, v7                               // 00000000A658: 0ADE0F6F
	v_mul_f32_e32 v108, v108, v140                             // 00000000A65C: 0AD9196C
	v_mul_f32_e32 v109, v109, v141                             // 00000000A660: 0ADB1B6D
	v_mul_f32_e32 v110, v110, v142                             // 00000000A664: 0ADD1D6E
	v_mul_f32_e32 v111, v111, v143                             // 00000000A668: 0ADF1F6F
	s_branch label_201F                                        // 00000000A66C: BF820100

000000000000a670 <label_1F1F>:
	v_mul_f32_e64 v4, -v80, s6                                 // 00000000A670: D1050004 20000D50
	v_mul_f32_e64 v5, -v81, s6                                 // 00000000A678: D1050005 20000D51
	v_mul_f32_e64 v6, -v82, s6                                 // 00000000A680: D1050006 20000D52
	v_mul_f32_e64 v7, -v83, s6                                 // 00000000A688: D1050007 20000D53
	v_exp_f32_e32 v4, v4                                       // 00000000A690: 7E084104
	v_exp_f32_e32 v5, v5                                       // 00000000A694: 7E0A4105
	v_exp_f32_e32 v6, v6                                       // 00000000A698: 7E0C4106
	v_exp_f32_e32 v7, v7                                       // 00000000A69C: 7E0E4107
	v_add_f32_e64 v4, v4, 1.0                                  // 00000000A6A0: D1010004 0001E504
	v_add_f32_e64 v5, v5, 1.0                                  // 00000000A6A8: D1010005 0001E505
	v_add_f32_e64 v6, v6, 1.0                                  // 00000000A6B0: D1010006 0001E506
	v_add_f32_e64 v7, v7, 1.0                                  // 00000000A6B8: D1010007 0001E507
	v_rcp_f32_e32 v4, v4                                       // 00000000A6C0: 7E084504
	v_rcp_f32_e32 v5, v5                                       // 00000000A6C4: 7E0A4505
	v_rcp_f32_e32 v6, v6                                       // 00000000A6C8: 7E0C4506
	v_rcp_f32_e32 v7, v7                                       // 00000000A6CC: 7E0E4507
	v_mul_f32_e32 v80, v80, v4                                 // 00000000A6D0: 0AA00950
	v_mul_f32_e32 v81, v81, v5                                 // 00000000A6D4: 0AA20B51
	v_mul_f32_e32 v82, v82, v6                                 // 00000000A6D8: 0AA40D52
	v_mul_f32_e32 v83, v83, v7                                 // 00000000A6DC: 0AA60F53
	v_mul_f32_e32 v80, v80, v112                               // 00000000A6E0: 0AA0E150
	v_mul_f32_e32 v81, v81, v113                               // 00000000A6E4: 0AA2E351
	v_mul_f32_e32 v82, v82, v114                               // 00000000A6E8: 0AA4E552
	v_mul_f32_e32 v83, v83, v115                               // 00000000A6EC: 0AA6E753
	v_mul_f32_e64 v4, -v84, s6                                 // 00000000A6F0: D1050004 20000D54
	v_mul_f32_e64 v5, -v85, s6                                 // 00000000A6F8: D1050005 20000D55
	v_mul_f32_e64 v6, -v86, s6                                 // 00000000A700: D1050006 20000D56
	v_mul_f32_e64 v7, -v87, s6                                 // 00000000A708: D1050007 20000D57
	v_exp_f32_e32 v4, v4                                       // 00000000A710: 7E084104
	v_exp_f32_e32 v5, v5                                       // 00000000A714: 7E0A4105
	v_exp_f32_e32 v6, v6                                       // 00000000A718: 7E0C4106
	v_exp_f32_e32 v7, v7                                       // 00000000A71C: 7E0E4107
	v_add_f32_e64 v4, v4, 1.0                                  // 00000000A720: D1010004 0001E504
	v_add_f32_e64 v5, v5, 1.0                                  // 00000000A728: D1010005 0001E505
	v_add_f32_e64 v6, v6, 1.0                                  // 00000000A730: D1010006 0001E506
	v_add_f32_e64 v7, v7, 1.0                                  // 00000000A738: D1010007 0001E507
	v_rcp_f32_e32 v4, v4                                       // 00000000A740: 7E084504
	v_rcp_f32_e32 v5, v5                                       // 00000000A744: 7E0A4505
	v_rcp_f32_e32 v6, v6                                       // 00000000A748: 7E0C4506
	v_rcp_f32_e32 v7, v7                                       // 00000000A74C: 7E0E4507
	v_mul_f32_e32 v84, v84, v4                                 // 00000000A750: 0AA80954
	v_mul_f32_e32 v85, v85, v5                                 // 00000000A754: 0AAA0B55
	v_mul_f32_e32 v86, v86, v6                                 // 00000000A758: 0AAC0D56
	v_mul_f32_e32 v87, v87, v7                                 // 00000000A75C: 0AAE0F57
	v_mul_f32_e32 v84, v84, v116                               // 00000000A760: 0AA8E954
	v_mul_f32_e32 v85, v85, v117                               // 00000000A764: 0AAAEB55
	v_mul_f32_e32 v86, v86, v118                               // 00000000A768: 0AACED56
	v_mul_f32_e32 v87, v87, v119                               // 00000000A76C: 0AAEEF57
	v_mul_f32_e64 v4, -v88, s6                                 // 00000000A770: D1050004 20000D58
	v_mul_f32_e64 v5, -v89, s6                                 // 00000000A778: D1050005 20000D59
	v_mul_f32_e64 v6, -v90, s6                                 // 00000000A780: D1050006 20000D5A
	v_mul_f32_e64 v7, -v91, s6                                 // 00000000A788: D1050007 20000D5B
	v_exp_f32_e32 v4, v4                                       // 00000000A790: 7E084104
	v_exp_f32_e32 v5, v5                                       // 00000000A794: 7E0A4105
	v_exp_f32_e32 v6, v6                                       // 00000000A798: 7E0C4106
	v_exp_f32_e32 v7, v7                                       // 00000000A79C: 7E0E4107
	v_add_f32_e64 v4, v4, 1.0                                  // 00000000A7A0: D1010004 0001E504
	v_add_f32_e64 v5, v5, 1.0                                  // 00000000A7A8: D1010005 0001E505
	v_add_f32_e64 v6, v6, 1.0                                  // 00000000A7B0: D1010006 0001E506
	v_add_f32_e64 v7, v7, 1.0                                  // 00000000A7B8: D1010007 0001E507
	v_rcp_f32_e32 v4, v4                                       // 00000000A7C0: 7E084504
	v_rcp_f32_e32 v5, v5                                       // 00000000A7C4: 7E0A4505
	v_rcp_f32_e32 v6, v6                                       // 00000000A7C8: 7E0C4506
	v_rcp_f32_e32 v7, v7                                       // 00000000A7CC: 7E0E4507
	v_mul_f32_e32 v88, v88, v4                                 // 00000000A7D0: 0AB00958
	v_mul_f32_e32 v89, v89, v5                                 // 00000000A7D4: 0AB20B59
	v_mul_f32_e32 v90, v90, v6                                 // 00000000A7D8: 0AB40D5A
	v_mul_f32_e32 v91, v91, v7                                 // 00000000A7DC: 0AB60F5B
	v_mul_f32_e32 v88, v88, v120                               // 00000000A7E0: 0AB0F158
	v_mul_f32_e32 v89, v89, v121                               // 00000000A7E4: 0AB2F359
	v_mul_f32_e32 v90, v90, v122                               // 00000000A7E8: 0AB4F55A
	v_mul_f32_e32 v91, v91, v123                               // 00000000A7EC: 0AB6F75B
	v_mul_f32_e64 v4, -v92, s6                                 // 00000000A7F0: D1050004 20000D5C
	v_mul_f32_e64 v5, -v93, s6                                 // 00000000A7F8: D1050005 20000D5D
	v_mul_f32_e64 v6, -v94, s6                                 // 00000000A800: D1050006 20000D5E
	v_mul_f32_e64 v7, -v95, s6                                 // 00000000A808: D1050007 20000D5F
	v_exp_f32_e32 v4, v4                                       // 00000000A810: 7E084104
	v_exp_f32_e32 v5, v5                                       // 00000000A814: 7E0A4105
	v_exp_f32_e32 v6, v6                                       // 00000000A818: 7E0C4106
	v_exp_f32_e32 v7, v7                                       // 00000000A81C: 7E0E4107
	v_add_f32_e64 v4, v4, 1.0                                  // 00000000A820: D1010004 0001E504
	v_add_f32_e64 v5, v5, 1.0                                  // 00000000A828: D1010005 0001E505
	v_add_f32_e64 v6, v6, 1.0                                  // 00000000A830: D1010006 0001E506
	v_add_f32_e64 v7, v7, 1.0                                  // 00000000A838: D1010007 0001E507
	v_rcp_f32_e32 v4, v4                                       // 00000000A840: 7E084504
	v_rcp_f32_e32 v5, v5                                       // 00000000A844: 7E0A4505
	v_rcp_f32_e32 v6, v6                                       // 00000000A848: 7E0C4506
	v_rcp_f32_e32 v7, v7                                       // 00000000A84C: 7E0E4507
	v_mul_f32_e32 v92, v92, v4                                 // 00000000A850: 0AB8095C
	v_mul_f32_e32 v93, v93, v5                                 // 00000000A854: 0ABA0B5D
	v_mul_f32_e32 v94, v94, v6                                 // 00000000A858: 0ABC0D5E
	v_mul_f32_e32 v95, v95, v7                                 // 00000000A85C: 0ABE0F5F
	v_mul_f32_e32 v92, v92, v124                               // 00000000A860: 0AB8F95C
	v_mul_f32_e32 v93, v93, v125                               // 00000000A864: 0ABAFB5D
	v_mul_f32_e32 v94, v94, v126                               // 00000000A868: 0ABCFD5E
	v_mul_f32_e32 v95, v95, v127                               // 00000000A86C: 0ABEFF5F
	v_mul_f32_e64 v4, -v96, s6                                 // 00000000A870: D1050004 20000D60
	v_mul_f32_e64 v5, -v97, s6                                 // 00000000A878: D1050005 20000D61
	v_mul_f32_e64 v6, -v98, s6                                 // 00000000A880: D1050006 20000D62
	v_mul_f32_e64 v7, -v99, s6                                 // 00000000A888: D1050007 20000D63
	v_exp_f32_e32 v4, v4                                       // 00000000A890: 7E084104
	v_exp_f32_e32 v5, v5                                       // 00000000A894: 7E0A4105
	v_exp_f32_e32 v6, v6                                       // 00000000A898: 7E0C4106
	v_exp_f32_e32 v7, v7                                       // 00000000A89C: 7E0E4107
	v_add_f32_e64 v4, v4, 1.0                                  // 00000000A8A0: D1010004 0001E504
	v_add_f32_e64 v5, v5, 1.0                                  // 00000000A8A8: D1010005 0001E505
	v_add_f32_e64 v6, v6, 1.0                                  // 00000000A8B0: D1010006 0001E506
	v_add_f32_e64 v7, v7, 1.0                                  // 00000000A8B8: D1010007 0001E507
	v_rcp_f32_e32 v4, v4                                       // 00000000A8C0: 7E084504
	v_rcp_f32_e32 v5, v5                                       // 00000000A8C4: 7E0A4505
	v_rcp_f32_e32 v6, v6                                       // 00000000A8C8: 7E0C4506
	v_rcp_f32_e32 v7, v7                                       // 00000000A8CC: 7E0E4507
	v_mul_f32_e32 v96, v96, v4                                 // 00000000A8D0: 0AC00960
	v_mul_f32_e32 v97, v97, v5                                 // 00000000A8D4: 0AC20B61
	v_mul_f32_e32 v98, v98, v6                                 // 00000000A8D8: 0AC40D62
	v_mul_f32_e32 v99, v99, v7                                 // 00000000A8DC: 0AC60F63
	v_mul_f32_e32 v96, v96, v128                               // 00000000A8E0: 0AC10160
	v_mul_f32_e32 v97, v97, v129                               // 00000000A8E4: 0AC30361
	v_mul_f32_e32 v98, v98, v130                               // 00000000A8E8: 0AC50562
	v_mul_f32_e32 v99, v99, v131                               // 00000000A8EC: 0AC70763
	v_mul_f32_e64 v4, -v100, s6                                // 00000000A8F0: D1050004 20000D64
	v_mul_f32_e64 v5, -v101, s6                                // 00000000A8F8: D1050005 20000D65
	v_mul_f32_e64 v6, -v102, s6                                // 00000000A900: D1050006 20000D66
	v_mul_f32_e64 v7, -v103, s6                                // 00000000A908: D1050007 20000D67
	v_exp_f32_e32 v4, v4                                       // 00000000A910: 7E084104
	v_exp_f32_e32 v5, v5                                       // 00000000A914: 7E0A4105
	v_exp_f32_e32 v6, v6                                       // 00000000A918: 7E0C4106
	v_exp_f32_e32 v7, v7                                       // 00000000A91C: 7E0E4107
	v_add_f32_e64 v4, v4, 1.0                                  // 00000000A920: D1010004 0001E504
	v_add_f32_e64 v5, v5, 1.0                                  // 00000000A928: D1010005 0001E505
	v_add_f32_e64 v6, v6, 1.0                                  // 00000000A930: D1010006 0001E506
	v_add_f32_e64 v7, v7, 1.0                                  // 00000000A938: D1010007 0001E507
	v_rcp_f32_e32 v4, v4                                       // 00000000A940: 7E084504
	v_rcp_f32_e32 v5, v5                                       // 00000000A944: 7E0A4505
	v_rcp_f32_e32 v6, v6                                       // 00000000A948: 7E0C4506
	v_rcp_f32_e32 v7, v7                                       // 00000000A94C: 7E0E4507
	v_mul_f32_e32 v100, v100, v4                               // 00000000A950: 0AC80964
	v_mul_f32_e32 v101, v101, v5                               // 00000000A954: 0ACA0B65
	v_mul_f32_e32 v102, v102, v6                               // 00000000A958: 0ACC0D66
	v_mul_f32_e32 v103, v103, v7                               // 00000000A95C: 0ACE0F67
	v_mul_f32_e32 v100, v100, v132                             // 00000000A960: 0AC90964
	v_mul_f32_e32 v101, v101, v133                             // 00000000A964: 0ACB0B65
	v_mul_f32_e32 v102, v102, v134                             // 00000000A968: 0ACD0D66
	v_mul_f32_e32 v103, v103, v135                             // 00000000A96C: 0ACF0F67
	v_mul_f32_e64 v4, -v104, s6                                // 00000000A970: D1050004 20000D68
	v_mul_f32_e64 v5, -v105, s6                                // 00000000A978: D1050005 20000D69
	v_mul_f32_e64 v6, -v106, s6                                // 00000000A980: D1050006 20000D6A
	v_mul_f32_e64 v7, -v107, s6                                // 00000000A988: D1050007 20000D6B
	v_exp_f32_e32 v4, v4                                       // 00000000A990: 7E084104
	v_exp_f32_e32 v5, v5                                       // 00000000A994: 7E0A4105
	v_exp_f32_e32 v6, v6                                       // 00000000A998: 7E0C4106
	v_exp_f32_e32 v7, v7                                       // 00000000A99C: 7E0E4107
	v_add_f32_e64 v4, v4, 1.0                                  // 00000000A9A0: D1010004 0001E504
	v_add_f32_e64 v5, v5, 1.0                                  // 00000000A9A8: D1010005 0001E505
	v_add_f32_e64 v6, v6, 1.0                                  // 00000000A9B0: D1010006 0001E506
	v_add_f32_e64 v7, v7, 1.0                                  // 00000000A9B8: D1010007 0001E507
	v_rcp_f32_e32 v4, v4                                       // 00000000A9C0: 7E084504
	v_rcp_f32_e32 v5, v5                                       // 00000000A9C4: 7E0A4505
	v_rcp_f32_e32 v6, v6                                       // 00000000A9C8: 7E0C4506
	v_rcp_f32_e32 v7, v7                                       // 00000000A9CC: 7E0E4507
	v_mul_f32_e32 v104, v104, v4                               // 00000000A9D0: 0AD00968
	v_mul_f32_e32 v105, v105, v5                               // 00000000A9D4: 0AD20B69
	v_mul_f32_e32 v106, v106, v6                               // 00000000A9D8: 0AD40D6A
	v_mul_f32_e32 v107, v107, v7                               // 00000000A9DC: 0AD60F6B
	v_mul_f32_e32 v104, v104, v136                             // 00000000A9E0: 0AD11168
	v_mul_f32_e32 v105, v105, v137                             // 00000000A9E4: 0AD31369
	v_mul_f32_e32 v106, v106, v138                             // 00000000A9E8: 0AD5156A
	v_mul_f32_e32 v107, v107, v139                             // 00000000A9EC: 0AD7176B
	v_mul_f32_e64 v4, -v108, s6                                // 00000000A9F0: D1050004 20000D6C
	v_mul_f32_e64 v5, -v109, s6                                // 00000000A9F8: D1050005 20000D6D
	v_mul_f32_e64 v6, -v110, s6                                // 00000000AA00: D1050006 20000D6E
	v_mul_f32_e64 v7, -v111, s6                                // 00000000AA08: D1050007 20000D6F
	v_exp_f32_e32 v4, v4                                       // 00000000AA10: 7E084104
	v_exp_f32_e32 v5, v5                                       // 00000000AA14: 7E0A4105
	v_exp_f32_e32 v6, v6                                       // 00000000AA18: 7E0C4106
	v_exp_f32_e32 v7, v7                                       // 00000000AA1C: 7E0E4107
	v_add_f32_e64 v4, v4, 1.0                                  // 00000000AA20: D1010004 0001E504
	v_add_f32_e64 v5, v5, 1.0                                  // 00000000AA28: D1010005 0001E505
	v_add_f32_e64 v6, v6, 1.0                                  // 00000000AA30: D1010006 0001E506
	v_add_f32_e64 v7, v7, 1.0                                  // 00000000AA38: D1010007 0001E507
	v_rcp_f32_e32 v4, v4                                       // 00000000AA40: 7E084504
	v_rcp_f32_e32 v5, v5                                       // 00000000AA44: 7E0A4505
	v_rcp_f32_e32 v6, v6                                       // 00000000AA48: 7E0C4506
	v_rcp_f32_e32 v7, v7                                       // 00000000AA4C: 7E0E4507
	v_mul_f32_e32 v108, v108, v4                               // 00000000AA50: 0AD8096C
	v_mul_f32_e32 v109, v109, v5                               // 00000000AA54: 0ADA0B6D
	v_mul_f32_e32 v110, v110, v6                               // 00000000AA58: 0ADC0D6E
	v_mul_f32_e32 v111, v111, v7                               // 00000000AA5C: 0ADE0F6F
	v_mul_f32_e32 v108, v108, v140                             // 00000000AA60: 0AD9196C
	v_mul_f32_e32 v109, v109, v141                             // 00000000AA64: 0ADB1B6D
	v_mul_f32_e32 v110, v110, v142                             // 00000000AA68: 0ADD1D6E
	v_mul_f32_e32 v111, v111, v143                             // 00000000AA6C: 0ADF1F6F

000000000000aa70 <label_201F>:
	v_cmp_u_f32_e64 s[46:47], v80, v80                         // 00000000AA70: D048002E 0002A150
	v_add3_u32 v16, v80, v19, 1                                // 00000000AA78: D1FF0010 02062750
	v_cndmask_b32_e64 v4, v16, v18, s[46:47]                   // 00000000AA80: D1000004 00BA2510
	v_cmp_u_f32_e64 s[46:47], v81, v81                         // 00000000AA88: D048002E 0002A351
	v_add3_u32 v16, v81, v19, 1                                // 00000000AA90: D1FF0010 02062751
	v_cndmask_b32_e64 v5, v16, v18, s[46:47]                   // 00000000AA98: D1000005 00BA2510
	v_perm_b32 v80, v5, v4, s52                                // 00000000AAA0: D1ED0050 00D20905
	v_cmp_u_f32_e64 s[46:47], v82, v82                         // 00000000AAA8: D048002E 0002A552
	v_add3_u32 v16, v82, v19, 1                                // 00000000AAB0: D1FF0010 02062752
	v_cndmask_b32_e64 v4, v16, v18, s[46:47]                   // 00000000AAB8: D1000004 00BA2510
	v_cmp_u_f32_e64 s[46:47], v83, v83                         // 00000000AAC0: D048002E 0002A753
	v_add3_u32 v16, v83, v19, 1                                // 00000000AAC8: D1FF0010 02062753
	v_cndmask_b32_e64 v5, v16, v18, s[46:47]                   // 00000000AAD0: D1000005 00BA2510
	v_perm_b32 v81, v5, v4, s52                                // 00000000AAD8: D1ED0051 00D20905
	v_cmp_u_f32_e64 s[46:47], v84, v84                         // 00000000AAE0: D048002E 0002A954
	v_add3_u32 v16, v84, v19, 1                                // 00000000AAE8: D1FF0010 02062754
	v_cndmask_b32_e64 v4, v16, v18, s[46:47]                   // 00000000AAF0: D1000004 00BA2510
	v_cmp_u_f32_e64 s[46:47], v85, v85                         // 00000000AAF8: D048002E 0002AB55
	v_add3_u32 v16, v85, v19, 1                                // 00000000AB00: D1FF0010 02062755
	v_cndmask_b32_e64 v5, v16, v18, s[46:47]                   // 00000000AB08: D1000005 00BA2510
	v_perm_b32 v82, v5, v4, s52                                // 00000000AB10: D1ED0052 00D20905
	v_cmp_u_f32_e64 s[46:47], v86, v86                         // 00000000AB18: D048002E 0002AD56
	v_add3_u32 v16, v86, v19, 1                                // 00000000AB20: D1FF0010 02062756
	v_cndmask_b32_e64 v4, v16, v18, s[46:47]                   // 00000000AB28: D1000004 00BA2510
	v_cmp_u_f32_e64 s[46:47], v87, v87                         // 00000000AB30: D048002E 0002AF57
	v_add3_u32 v16, v87, v19, 1                                // 00000000AB38: D1FF0010 02062757
	v_cndmask_b32_e64 v5, v16, v18, s[46:47]                   // 00000000AB40: D1000005 00BA2510
	v_perm_b32 v83, v5, v4, s52                                // 00000000AB48: D1ED0053 00D20905
	v_cmp_u_f32_e64 s[46:47], v88, v88                         // 00000000AB50: D048002E 0002B158
	v_add3_u32 v16, v88, v19, 1                                // 00000000AB58: D1FF0010 02062758
	v_cndmask_b32_e64 v4, v16, v18, s[46:47]                   // 00000000AB60: D1000004 00BA2510
	v_cmp_u_f32_e64 s[46:47], v89, v89                         // 00000000AB68: D048002E 0002B359
	v_add3_u32 v16, v89, v19, 1                                // 00000000AB70: D1FF0010 02062759
	v_cndmask_b32_e64 v5, v16, v18, s[46:47]                   // 00000000AB78: D1000005 00BA2510
	v_perm_b32 v84, v5, v4, s52                                // 00000000AB80: D1ED0054 00D20905
	v_cmp_u_f32_e64 s[46:47], v90, v90                         // 00000000AB88: D048002E 0002B55A
	v_add3_u32 v16, v90, v19, 1                                // 00000000AB90: D1FF0010 0206275A
	v_cndmask_b32_e64 v4, v16, v18, s[46:47]                   // 00000000AB98: D1000004 00BA2510
	v_cmp_u_f32_e64 s[46:47], v91, v91                         // 00000000ABA0: D048002E 0002B75B
	v_add3_u32 v16, v91, v19, 1                                // 00000000ABA8: D1FF0010 0206275B
	v_cndmask_b32_e64 v5, v16, v18, s[46:47]                   // 00000000ABB0: D1000005 00BA2510
	v_perm_b32 v85, v5, v4, s52                                // 00000000ABB8: D1ED0055 00D20905
	v_cmp_u_f32_e64 s[46:47], v92, v92                         // 00000000ABC0: D048002E 0002B95C
	v_add3_u32 v16, v92, v19, 1                                // 00000000ABC8: D1FF0010 0206275C
	v_cndmask_b32_e64 v4, v16, v18, s[46:47]                   // 00000000ABD0: D1000004 00BA2510
	v_cmp_u_f32_e64 s[46:47], v93, v93                         // 00000000ABD8: D048002E 0002BB5D
	v_add3_u32 v16, v93, v19, 1                                // 00000000ABE0: D1FF0010 0206275D
	v_cndmask_b32_e64 v5, v16, v18, s[46:47]                   // 00000000ABE8: D1000005 00BA2510
	v_perm_b32 v86, v5, v4, s52                                // 00000000ABF0: D1ED0056 00D20905
	v_cmp_u_f32_e64 s[46:47], v94, v94                         // 00000000ABF8: D048002E 0002BD5E
	v_add3_u32 v16, v94, v19, 1                                // 00000000AC00: D1FF0010 0206275E
	v_cndmask_b32_e64 v4, v16, v18, s[46:47]                   // 00000000AC08: D1000004 00BA2510
	v_cmp_u_f32_e64 s[46:47], v95, v95                         // 00000000AC10: D048002E 0002BF5F
	v_add3_u32 v16, v95, v19, 1                                // 00000000AC18: D1FF0010 0206275F
	v_cndmask_b32_e64 v5, v16, v18, s[46:47]                   // 00000000AC20: D1000005 00BA2510
	v_perm_b32 v87, v5, v4, s52                                // 00000000AC28: D1ED0057 00D20905
	v_cmp_u_f32_e64 s[46:47], v96, v96                         // 00000000AC30: D048002E 0002C160
	v_add3_u32 v16, v96, v19, 1                                // 00000000AC38: D1FF0010 02062760
	v_cndmask_b32_e64 v4, v16, v18, s[46:47]                   // 00000000AC40: D1000004 00BA2510
	v_cmp_u_f32_e64 s[46:47], v97, v97                         // 00000000AC48: D048002E 0002C361
	v_add3_u32 v16, v97, v19, 1                                // 00000000AC50: D1FF0010 02062761
	v_cndmask_b32_e64 v5, v16, v18, s[46:47]                   // 00000000AC58: D1000005 00BA2510
	v_perm_b32 v88, v5, v4, s52                                // 00000000AC60: D1ED0058 00D20905
	v_cmp_u_f32_e64 s[46:47], v98, v98                         // 00000000AC68: D048002E 0002C562
	v_add3_u32 v16, v98, v19, 1                                // 00000000AC70: D1FF0010 02062762
	v_cndmask_b32_e64 v4, v16, v18, s[46:47]                   // 00000000AC78: D1000004 00BA2510
	v_cmp_u_f32_e64 s[46:47], v99, v99                         // 00000000AC80: D048002E 0002C763
	v_add3_u32 v16, v99, v19, 1                                // 00000000AC88: D1FF0010 02062763
	v_cndmask_b32_e64 v5, v16, v18, s[46:47]                   // 00000000AC90: D1000005 00BA2510
	v_perm_b32 v89, v5, v4, s52                                // 00000000AC98: D1ED0059 00D20905
	v_cmp_u_f32_e64 s[46:47], v100, v100                       // 00000000ACA0: D048002E 0002C964
	v_add3_u32 v16, v100, v19, 1                               // 00000000ACA8: D1FF0010 02062764
	v_cndmask_b32_e64 v4, v16, v18, s[46:47]                   // 00000000ACB0: D1000004 00BA2510
	v_cmp_u_f32_e64 s[46:47], v101, v101                       // 00000000ACB8: D048002E 0002CB65
	v_add3_u32 v16, v101, v19, 1                               // 00000000ACC0: D1FF0010 02062765
	v_cndmask_b32_e64 v5, v16, v18, s[46:47]                   // 00000000ACC8: D1000005 00BA2510
	v_perm_b32 v90, v5, v4, s52                                // 00000000ACD0: D1ED005A 00D20905
	v_cmp_u_f32_e64 s[46:47], v102, v102                       // 00000000ACD8: D048002E 0002CD66
	v_add3_u32 v16, v102, v19, 1                               // 00000000ACE0: D1FF0010 02062766
	v_cndmask_b32_e64 v4, v16, v18, s[46:47]                   // 00000000ACE8: D1000004 00BA2510
	v_cmp_u_f32_e64 s[46:47], v103, v103                       // 00000000ACF0: D048002E 0002CF67
	v_add3_u32 v16, v103, v19, 1                               // 00000000ACF8: D1FF0010 02062767
	v_cndmask_b32_e64 v5, v16, v18, s[46:47]                   // 00000000AD00: D1000005 00BA2510
	v_perm_b32 v91, v5, v4, s52                                // 00000000AD08: D1ED005B 00D20905
	v_cmp_u_f32_e64 s[46:47], v104, v104                       // 00000000AD10: D048002E 0002D168
	v_add3_u32 v16, v104, v19, 1                               // 00000000AD18: D1FF0010 02062768
	v_cndmask_b32_e64 v4, v16, v18, s[46:47]                   // 00000000AD20: D1000004 00BA2510
	v_cmp_u_f32_e64 s[46:47], v105, v105                       // 00000000AD28: D048002E 0002D369
	v_add3_u32 v16, v105, v19, 1                               // 00000000AD30: D1FF0010 02062769
	v_cndmask_b32_e64 v5, v16, v18, s[46:47]                   // 00000000AD38: D1000005 00BA2510
	v_perm_b32 v92, v5, v4, s52                                // 00000000AD40: D1ED005C 00D20905
	v_cmp_u_f32_e64 s[46:47], v106, v106                       // 00000000AD48: D048002E 0002D56A
	v_add3_u32 v16, v106, v19, 1                               // 00000000AD50: D1FF0010 0206276A
	v_cndmask_b32_e64 v4, v16, v18, s[46:47]                   // 00000000AD58: D1000004 00BA2510
	v_cmp_u_f32_e64 s[46:47], v107, v107                       // 00000000AD60: D048002E 0002D76B
	v_add3_u32 v16, v107, v19, 1                               // 00000000AD68: D1FF0010 0206276B
	v_cndmask_b32_e64 v5, v16, v18, s[46:47]                   // 00000000AD70: D1000005 00BA2510
	v_perm_b32 v93, v5, v4, s52                                // 00000000AD78: D1ED005D 00D20905
	v_cmp_u_f32_e64 s[46:47], v108, v108                       // 00000000AD80: D048002E 0002D96C
	v_add3_u32 v16, v108, v19, 1                               // 00000000AD88: D1FF0010 0206276C
	v_cndmask_b32_e64 v4, v16, v18, s[46:47]                   // 00000000AD90: D1000004 00BA2510
	v_cmp_u_f32_e64 s[46:47], v109, v109                       // 00000000AD98: D048002E 0002DB6D
	v_add3_u32 v16, v109, v19, 1                               // 00000000ADA0: D1FF0010 0206276D
	v_cndmask_b32_e64 v5, v16, v18, s[46:47]                   // 00000000ADA8: D1000005 00BA2510
	v_perm_b32 v94, v5, v4, s52                                // 00000000ADB0: D1ED005E 00D20905
	v_cmp_u_f32_e64 s[46:47], v110, v110                       // 00000000ADB8: D048002E 0002DD6E
	v_add3_u32 v16, v110, v19, 1                               // 00000000ADC0: D1FF0010 0206276E
	v_cndmask_b32_e64 v4, v16, v18, s[46:47]                   // 00000000ADC8: D1000004 00BA2510
	v_cmp_u_f32_e64 s[46:47], v111, v111                       // 00000000ADD0: D048002E 0002DF6F
	v_add3_u32 v16, v111, v19, 1                               // 00000000ADD8: D1FF0010 0206276F
	v_cndmask_b32_e64 v5, v16, v18, s[46:47]                   // 00000000ADE0: D1000005 00BA2510
	v_perm_b32 v95, v5, v4, s52                                // 00000000ADE8: D1ED005F 00D20905
	ds_write_b64 v20, v[80:81]                                 // 00000000ADF0: D89A0000 00005014
	ds_write_b64 v20, v[82:83] offset:2176                     // 00000000ADF8: D89A0880 00005214
	ds_write_b64 v20, v[84:85] offset:4352                     // 00000000AE00: D89A1100 00005414
	ds_write_b64 v20, v[86:87] offset:6528                     // 00000000AE08: D89A1980 00005614
	ds_write_b64 v20, v[88:89] offset:8704                     // 00000000AE10: D89A2200 00005814
	ds_write_b64 v20, v[90:91] offset:10880                    // 00000000AE18: D89A2A80 00005A14
	ds_write_b64 v20, v[92:93] offset:13056                    // 00000000AE20: D89A3300 00005C14
	ds_write_b64 v20, v[94:95] offset:15232                    // 00000000AE28: D89A3B80 00005E14
	v_lshrrev_b32_e32 v4, 5, v0                                // 00000000AE30: 20080085
	v_xor_b32_e32 v5, 1, v4                                    // 00000000AE34: 2A0A0881
	s_mul_i32 s60, s65, 2                                      // 00000000AE38: 923C8241
	s_cmp_eq_u32 s88, 0                                        // 00000000AE3C: BF068058
	s_cselect_b32 s61, 1, 4                                    // 00000000AE40: 853D8481
	s_mul_i32 s60, s61, s60                                    // 00000000AE44: 923C3C3D
	v_readlane_b32 s82, v3, 0                                  // 00000000AE48: D2890052 00010103
	s_lshr_b32 s61, s82, 24                                    // 00000000AE50: 8F3D9852
	s_and_b32 s82, s82, 0xffffff                               // 00000000AE54: 8652FF52 00FFFFFF
	s_mul_i32 s82, s82, s71                                    // 00000000AE5C: 92524752
	s_mul_i32 s61, s60, s61                                    // 00000000AE60: 923D3D3C
	s_add_u32 s82, s82, s61                                    // 00000000AE64: 80523D52
	v_mul_lo_u32 v6, v5, s82                                   // 00000000AE68: D2850006 0000A505
	v_readlane_b32 s82, v3, 1                                  // 00000000AE70: D2890052 00010303
	s_lshr_b32 s61, s82, 24                                    // 00000000AE78: 8F3D9852
	s_and_b32 s82, s82, 0xffffff                               // 00000000AE7C: 8652FF52 00FFFFFF
	s_mul_i32 s82, s82, s71                                    // 00000000AE84: 92524752
	s_mul_i32 s61, s60, s61                                    // 00000000AE88: 923D3D3C
	s_add_u32 s82, s82, s61                                    // 00000000AE8C: 80523D52
	v_mul_lo_u32 v7, v4, s82                                   // 00000000AE90: D2850007 0000A504
	v_add_u32_e32 v62, v6, v7                                  // 00000000AE98: 687C0F06
	v_readlane_b32 s82, v3, 2                                  // 00000000AE9C: D2890052 00010503
	s_lshr_b32 s61, s82, 24                                    // 00000000AEA4: 8F3D9852
	s_and_b32 s82, s82, 0xffffff                               // 00000000AEA8: 8652FF52 00FFFFFF
	s_mul_i32 s82, s82, s71                                    // 00000000AEB0: 92524752
	s_mul_i32 s61, s60, s61                                    // 00000000AEB4: 923D3D3C
	s_add_u32 s82, s82, s61                                    // 00000000AEB8: 80523D52
	v_mul_lo_u32 v6, v5, s82                                   // 00000000AEBC: D2850006 0000A505
	v_readlane_b32 s82, v3, 3                                  // 00000000AEC4: D2890052 00010703
	s_lshr_b32 s61, s82, 24                                    // 00000000AECC: 8F3D9852
	s_and_b32 s82, s82, 0xffffff                               // 00000000AED0: 8652FF52 00FFFFFF
	s_mul_i32 s82, s82, s71                                    // 00000000AED8: 92524752
	s_mul_i32 s61, s60, s61                                    // 00000000AEDC: 923D3D3C
	s_add_u32 s82, s82, s61                                    // 00000000AEE0: 80523D52
	v_mul_lo_u32 v7, v4, s82                                   // 00000000AEE4: D2850007 0000A504
	v_add_u32_e32 v63, v6, v7                                  // 00000000AEEC: 687E0F06
	v_readlane_b32 s82, v3, 4                                  // 00000000AEF0: D2890052 00010903
	s_lshr_b32 s61, s82, 24                                    // 00000000AEF8: 8F3D9852
	s_and_b32 s82, s82, 0xffffff                               // 00000000AEFC: 8652FF52 00FFFFFF
	s_mul_i32 s82, s82, s71                                    // 00000000AF04: 92524752
	s_mul_i32 s61, s60, s61                                    // 00000000AF08: 923D3D3C
	s_add_u32 s82, s82, s61                                    // 00000000AF0C: 80523D52
	v_mul_lo_u32 v6, v5, s82                                   // 00000000AF10: D2850006 0000A505
	v_readlane_b32 s82, v3, 5                                  // 00000000AF18: D2890052 00010B03
	s_lshr_b32 s61, s82, 24                                    // 00000000AF20: 8F3D9852
	s_and_b32 s82, s82, 0xffffff                               // 00000000AF24: 8652FF52 00FFFFFF
	s_mul_i32 s82, s82, s71                                    // 00000000AF2C: 92524752
	s_mul_i32 s61, s60, s61                                    // 00000000AF30: 923D3D3C
	s_add_u32 s82, s82, s61                                    // 00000000AF34: 80523D52
	v_mul_lo_u32 v7, v4, s82                                   // 00000000AF38: D2850007 0000A504
	v_add_u32_e32 v64, v6, v7                                  // 00000000AF40: 68800F06
	v_readlane_b32 s82, v3, 6                                  // 00000000AF44: D2890052 00010D03
	s_lshr_b32 s61, s82, 24                                    // 00000000AF4C: 8F3D9852
	s_and_b32 s82, s82, 0xffffff                               // 00000000AF50: 8652FF52 00FFFFFF
	s_mul_i32 s82, s82, s71                                    // 00000000AF58: 92524752
	s_mul_i32 s61, s60, s61                                    // 00000000AF5C: 923D3D3C
	s_add_u32 s82, s82, s61                                    // 00000000AF60: 80523D52
	v_mul_lo_u32 v6, v5, s82                                   // 00000000AF64: D2850006 0000A505
	v_readlane_b32 s82, v3, 7                                  // 00000000AF6C: D2890052 00010F03
	s_lshr_b32 s61, s82, 24                                    // 00000000AF74: 8F3D9852
	s_and_b32 s82, s82, 0xffffff                               // 00000000AF78: 8652FF52 00FFFFFF
	s_mul_i32 s82, s82, s71                                    // 00000000AF80: 92524752
	s_mul_i32 s61, s60, s61                                    // 00000000AF84: 923D3D3C
	s_add_u32 s82, s82, s61                                    // 00000000AF88: 80523D52
	v_mul_lo_u32 v7, v4, s82                                   // 00000000AF8C: D2850007 0000A504
	v_add_u32_e32 v65, v6, v7                                  // 00000000AF94: 68820F06
	v_readlane_b32 s82, v3, 8                                  // 00000000AF98: D2890052 00011103
	s_lshr_b32 s61, s82, 24                                    // 00000000AFA0: 8F3D9852
	s_and_b32 s82, s82, 0xffffff                               // 00000000AFA4: 8652FF52 00FFFFFF
	s_mul_i32 s82, s82, s71                                    // 00000000AFAC: 92524752
	s_mul_i32 s61, s60, s61                                    // 00000000AFB0: 923D3D3C
	s_add_u32 s82, s82, s61                                    // 00000000AFB4: 80523D52
	v_mul_lo_u32 v6, v5, s82                                   // 00000000AFB8: D2850006 0000A505
	v_readlane_b32 s82, v3, 9                                  // 00000000AFC0: D2890052 00011303
	s_lshr_b32 s61, s82, 24                                    // 00000000AFC8: 8F3D9852
	s_and_b32 s82, s82, 0xffffff                               // 00000000AFCC: 8652FF52 00FFFFFF
	s_mul_i32 s82, s82, s71                                    // 00000000AFD4: 92524752
	s_mul_i32 s61, s60, s61                                    // 00000000AFD8: 923D3D3C
	s_add_u32 s82, s82, s61                                    // 00000000AFDC: 80523D52
	v_mul_lo_u32 v7, v4, s82                                   // 00000000AFE0: D2850007 0000A504
	v_add_u32_e32 v66, v6, v7                                  // 00000000AFE8: 68840F06
	v_readlane_b32 s82, v3, 10                                 // 00000000AFEC: D2890052 00011503
	s_lshr_b32 s61, s82, 24                                    // 00000000AFF4: 8F3D9852
	s_and_b32 s82, s82, 0xffffff                               // 00000000AFF8: 8652FF52 00FFFFFF
	s_mul_i32 s82, s82, s71                                    // 00000000B000: 92524752
	s_mul_i32 s61, s60, s61                                    // 00000000B004: 923D3D3C
	s_add_u32 s82, s82, s61                                    // 00000000B008: 80523D52
	v_mul_lo_u32 v6, v5, s82                                   // 00000000B00C: D2850006 0000A505
	v_readlane_b32 s82, v3, 11                                 // 00000000B014: D2890052 00011703
	s_lshr_b32 s61, s82, 24                                    // 00000000B01C: 8F3D9852
	s_and_b32 s82, s82, 0xffffff                               // 00000000B020: 8652FF52 00FFFFFF
	s_mul_i32 s82, s82, s71                                    // 00000000B028: 92524752
	s_mul_i32 s61, s60, s61                                    // 00000000B02C: 923D3D3C
	s_add_u32 s82, s82, s61                                    // 00000000B030: 80523D52
	v_mul_lo_u32 v7, v4, s82                                   // 00000000B034: D2850007 0000A504
	v_add_u32_e32 v67, v6, v7                                  // 00000000B03C: 68860F06
	v_readlane_b32 s82, v3, 12                                 // 00000000B040: D2890052 00011903
	s_lshr_b32 s61, s82, 24                                    // 00000000B048: 8F3D9852
	s_and_b32 s82, s82, 0xffffff                               // 00000000B04C: 8652FF52 00FFFFFF
	s_mul_i32 s82, s82, s71                                    // 00000000B054: 92524752
	s_mul_i32 s61, s60, s61                                    // 00000000B058: 923D3D3C
	s_add_u32 s82, s82, s61                                    // 00000000B05C: 80523D52
	v_mul_lo_u32 v6, v5, s82                                   // 00000000B060: D2850006 0000A505
	v_readlane_b32 s82, v3, 13                                 // 00000000B068: D2890052 00011B03
	s_lshr_b32 s61, s82, 24                                    // 00000000B070: 8F3D9852
	s_and_b32 s82, s82, 0xffffff                               // 00000000B074: 8652FF52 00FFFFFF
	s_mul_i32 s82, s82, s71                                    // 00000000B07C: 92524752
	s_mul_i32 s61, s60, s61                                    // 00000000B080: 923D3D3C
	s_add_u32 s82, s82, s61                                    // 00000000B084: 80523D52
	v_mul_lo_u32 v7, v4, s82                                   // 00000000B088: D2850007 0000A504
	v_add_u32_e32 v68, v6, v7                                  // 00000000B090: 68880F06
	v_readlane_b32 s82, v3, 14                                 // 00000000B094: D2890052 00011D03
	s_lshr_b32 s61, s82, 24                                    // 00000000B09C: 8F3D9852
	s_and_b32 s82, s82, 0xffffff                               // 00000000B0A0: 8652FF52 00FFFFFF
	s_mul_i32 s82, s82, s71                                    // 00000000B0A8: 92524752
	s_mul_i32 s61, s60, s61                                    // 00000000B0AC: 923D3D3C
	s_add_u32 s82, s82, s61                                    // 00000000B0B0: 80523D52
	v_mul_lo_u32 v6, v5, s82                                   // 00000000B0B4: D2850006 0000A505
	v_readlane_b32 s82, v3, 15                                 // 00000000B0BC: D2890052 00011F03
	s_lshr_b32 s61, s82, 24                                    // 00000000B0C4: 8F3D9852
	s_and_b32 s82, s82, 0xffffff                               // 00000000B0C8: 8652FF52 00FFFFFF
	s_mul_i32 s82, s82, s71                                    // 00000000B0D0: 92524752
	s_mul_i32 s61, s60, s61                                    // 00000000B0D4: 923D3D3C
	s_add_u32 s82, s82, s61                                    // 00000000B0D8: 80523D52
	v_mul_lo_u32 v7, v4, s82                                   // 00000000B0DC: D2850007 0000A504
	v_add_u32_e32 v69, v6, v7                                  // 00000000B0E4: 688A0F06
	v_readlane_b32 s82, v3, 16                                 // 00000000B0E8: D2890052 00012103
	s_lshr_b32 s61, s82, 24                                    // 00000000B0F0: 8F3D9852
	s_and_b32 s82, s82, 0xffffff                               // 00000000B0F4: 8652FF52 00FFFFFF
	s_mul_i32 s82, s82, s71                                    // 00000000B0FC: 92524752
	s_mul_i32 s61, s60, s61                                    // 00000000B100: 923D3D3C
	s_add_u32 s82, s82, s61                                    // 00000000B104: 80523D52
	v_mul_lo_u32 v6, v5, s82                                   // 00000000B108: D2850006 0000A505
	v_readlane_b32 s82, v3, 17                                 // 00000000B110: D2890052 00012303
	s_lshr_b32 s61, s82, 24                                    // 00000000B118: 8F3D9852
	s_and_b32 s82, s82, 0xffffff                               // 00000000B11C: 8652FF52 00FFFFFF
	s_mul_i32 s82, s82, s71                                    // 00000000B124: 92524752
	s_mul_i32 s61, s60, s61                                    // 00000000B128: 923D3D3C
	s_add_u32 s82, s82, s61                                    // 00000000B12C: 80523D52
	v_mul_lo_u32 v7, v4, s82                                   // 00000000B130: D2850007 0000A504
	v_add_u32_e32 v70, v6, v7                                  // 00000000B138: 688C0F06
	v_readlane_b32 s82, v3, 18                                 // 00000000B13C: D2890052 00012503
	s_lshr_b32 s61, s82, 24                                    // 00000000B144: 8F3D9852
	s_and_b32 s82, s82, 0xffffff                               // 00000000B148: 8652FF52 00FFFFFF
	s_mul_i32 s82, s82, s71                                    // 00000000B150: 92524752
	s_mul_i32 s61, s60, s61                                    // 00000000B154: 923D3D3C
	s_add_u32 s82, s82, s61                                    // 00000000B158: 80523D52
	v_mul_lo_u32 v6, v5, s82                                   // 00000000B15C: D2850006 0000A505
	v_readlane_b32 s82, v3, 19                                 // 00000000B164: D2890052 00012703
	s_lshr_b32 s61, s82, 24                                    // 00000000B16C: 8F3D9852
	s_and_b32 s82, s82, 0xffffff                               // 00000000B170: 8652FF52 00FFFFFF
	s_mul_i32 s82, s82, s71                                    // 00000000B178: 92524752
	s_mul_i32 s61, s60, s61                                    // 00000000B17C: 923D3D3C
	s_add_u32 s82, s82, s61                                    // 00000000B180: 80523D52
	v_mul_lo_u32 v7, v4, s82                                   // 00000000B184: D2850007 0000A504
	v_add_u32_e32 v71, v6, v7                                  // 00000000B18C: 688E0F06
	v_readlane_b32 s82, v3, 20                                 // 00000000B190: D2890052 00012903
	s_lshr_b32 s61, s82, 24                                    // 00000000B198: 8F3D9852
	s_and_b32 s82, s82, 0xffffff                               // 00000000B19C: 8652FF52 00FFFFFF
	s_mul_i32 s82, s82, s71                                    // 00000000B1A4: 92524752
	s_mul_i32 s61, s60, s61                                    // 00000000B1A8: 923D3D3C
	s_add_u32 s82, s82, s61                                    // 00000000B1AC: 80523D52
	v_mul_lo_u32 v6, v5, s82                                   // 00000000B1B0: D2850006 0000A505
	v_readlane_b32 s82, v3, 21                                 // 00000000B1B8: D2890052 00012B03
	s_lshr_b32 s61, s82, 24                                    // 00000000B1C0: 8F3D9852
	s_and_b32 s82, s82, 0xffffff                               // 00000000B1C4: 8652FF52 00FFFFFF
	s_mul_i32 s82, s82, s71                                    // 00000000B1CC: 92524752
	s_mul_i32 s61, s60, s61                                    // 00000000B1D0: 923D3D3C
	s_add_u32 s82, s82, s61                                    // 00000000B1D4: 80523D52
	v_mul_lo_u32 v7, v4, s82                                   // 00000000B1D8: D2850007 0000A504
	v_add_u32_e32 v72, v6, v7                                  // 00000000B1E0: 68900F06
	v_readlane_b32 s82, v3, 22                                 // 00000000B1E4: D2890052 00012D03
	s_lshr_b32 s61, s82, 24                                    // 00000000B1EC: 8F3D9852
	s_and_b32 s82, s82, 0xffffff                               // 00000000B1F0: 8652FF52 00FFFFFF
	s_mul_i32 s82, s82, s71                                    // 00000000B1F8: 92524752
	s_mul_i32 s61, s60, s61                                    // 00000000B1FC: 923D3D3C
	s_add_u32 s82, s82, s61                                    // 00000000B200: 80523D52
	v_mul_lo_u32 v6, v5, s82                                   // 00000000B204: D2850006 0000A505
	v_readlane_b32 s82, v3, 23                                 // 00000000B20C: D2890052 00012F03
	s_lshr_b32 s61, s82, 24                                    // 00000000B214: 8F3D9852
	s_and_b32 s82, s82, 0xffffff                               // 00000000B218: 8652FF52 00FFFFFF
	s_mul_i32 s82, s82, s71                                    // 00000000B220: 92524752
	s_mul_i32 s61, s60, s61                                    // 00000000B224: 923D3D3C
	s_add_u32 s82, s82, s61                                    // 00000000B228: 80523D52
	v_mul_lo_u32 v7, v4, s82                                   // 00000000B22C: D2850007 0000A504
	v_add_u32_e32 v73, v6, v7                                  // 00000000B234: 68920F06
	v_readlane_b32 s82, v3, 24                                 // 00000000B238: D2890052 00013103
	s_lshr_b32 s61, s82, 24                                    // 00000000B240: 8F3D9852
	s_and_b32 s82, s82, 0xffffff                               // 00000000B244: 8652FF52 00FFFFFF
	s_mul_i32 s82, s82, s71                                    // 00000000B24C: 92524752
	s_mul_i32 s61, s60, s61                                    // 00000000B250: 923D3D3C
	s_add_u32 s82, s82, s61                                    // 00000000B254: 80523D52
	v_mul_lo_u32 v6, v5, s82                                   // 00000000B258: D2850006 0000A505
	v_readlane_b32 s82, v3, 25                                 // 00000000B260: D2890052 00013303
	s_lshr_b32 s61, s82, 24                                    // 00000000B268: 8F3D9852
	s_and_b32 s82, s82, 0xffffff                               // 00000000B26C: 8652FF52 00FFFFFF
	s_mul_i32 s82, s82, s71                                    // 00000000B274: 92524752
	s_mul_i32 s61, s60, s61                                    // 00000000B278: 923D3D3C
	s_add_u32 s82, s82, s61                                    // 00000000B27C: 80523D52
	v_mul_lo_u32 v7, v4, s82                                   // 00000000B280: D2850007 0000A504
	v_add_u32_e32 v74, v6, v7                                  // 00000000B288: 68940F06
	v_readlane_b32 s82, v3, 26                                 // 00000000B28C: D2890052 00013503
	s_lshr_b32 s61, s82, 24                                    // 00000000B294: 8F3D9852
	s_and_b32 s82, s82, 0xffffff                               // 00000000B298: 8652FF52 00FFFFFF
	s_mul_i32 s82, s82, s71                                    // 00000000B2A0: 92524752
	s_mul_i32 s61, s60, s61                                    // 00000000B2A4: 923D3D3C
	s_add_u32 s82, s82, s61                                    // 00000000B2A8: 80523D52
	v_mul_lo_u32 v6, v5, s82                                   // 00000000B2AC: D2850006 0000A505
	v_readlane_b32 s82, v3, 27                                 // 00000000B2B4: D2890052 00013703
	s_lshr_b32 s61, s82, 24                                    // 00000000B2BC: 8F3D9852
	s_and_b32 s82, s82, 0xffffff                               // 00000000B2C0: 8652FF52 00FFFFFF
	s_mul_i32 s82, s82, s71                                    // 00000000B2C8: 92524752
	s_mul_i32 s61, s60, s61                                    // 00000000B2CC: 923D3D3C
	s_add_u32 s82, s82, s61                                    // 00000000B2D0: 80523D52
	v_mul_lo_u32 v7, v4, s82                                   // 00000000B2D4: D2850007 0000A504
	v_add_u32_e32 v75, v6, v7                                  // 00000000B2DC: 68960F06
	v_readlane_b32 s82, v3, 28                                 // 00000000B2E0: D2890052 00013903
	s_lshr_b32 s61, s82, 24                                    // 00000000B2E8: 8F3D9852
	s_and_b32 s82, s82, 0xffffff                               // 00000000B2EC: 8652FF52 00FFFFFF
	s_mul_i32 s82, s82, s71                                    // 00000000B2F4: 92524752
	s_mul_i32 s61, s60, s61                                    // 00000000B2F8: 923D3D3C
	s_add_u32 s82, s82, s61                                    // 00000000B2FC: 80523D52
	v_mul_lo_u32 v6, v5, s82                                   // 00000000B300: D2850006 0000A505
	v_readlane_b32 s82, v3, 29                                 // 00000000B308: D2890052 00013B03
	s_lshr_b32 s61, s82, 24                                    // 00000000B310: 8F3D9852
	s_and_b32 s82, s82, 0xffffff                               // 00000000B314: 8652FF52 00FFFFFF
	s_mul_i32 s82, s82, s71                                    // 00000000B31C: 92524752
	s_mul_i32 s61, s60, s61                                    // 00000000B320: 923D3D3C
	s_add_u32 s82, s82, s61                                    // 00000000B324: 80523D52
	v_mul_lo_u32 v7, v4, s82                                   // 00000000B328: D2850007 0000A504
	v_add_u32_e32 v76, v6, v7                                  // 00000000B330: 68980F06
	v_readlane_b32 s82, v3, 30                                 // 00000000B334: D2890052 00013D03
	s_lshr_b32 s61, s82, 24                                    // 00000000B33C: 8F3D9852
	s_and_b32 s82, s82, 0xffffff                               // 00000000B340: 8652FF52 00FFFFFF
	s_mul_i32 s82, s82, s71                                    // 00000000B348: 92524752
	s_mul_i32 s61, s60, s61                                    // 00000000B34C: 923D3D3C
	s_add_u32 s82, s82, s61                                    // 00000000B350: 80523D52
	v_mul_lo_u32 v6, v5, s82                                   // 00000000B354: D2850006 0000A505
	v_readlane_b32 s82, v3, 31                                 // 00000000B35C: D2890052 00013F03
	s_lshr_b32 s61, s82, 24                                    // 00000000B364: 8F3D9852
	s_and_b32 s82, s82, 0xffffff                               // 00000000B368: 8652FF52 00FFFFFF
	s_mul_i32 s82, s82, s71                                    // 00000000B370: 92524752
	s_mul_i32 s61, s60, s61                                    // 00000000B374: 923D3D3C
	s_add_u32 s82, s82, s61                                    // 00000000B378: 80523D52
	v_mul_lo_u32 v7, v4, s82                                   // 00000000B37C: D2850007 0000A504
	v_add_u32_e32 v77, v6, v7                                  // 00000000B384: 689A0F06
	v_and_b32_e32 v4, 31, v0                                   // 00000000B388: 2608009F
	v_lshrrev_b32_e32 v4, 1, v4                                // 00000000B38C: 20080881
	s_cmp_eq_u32 s88, 0                                        // 00000000B390: BF068058
	s_cselect_b32 s61, 2, 4                                    // 00000000B394: 853D8482
	v_mul_lo_u32 v4, v4, s61                                   // 00000000B398: D2850004 00007B04
	v_and_b32_e64 v5, v0, 1                                    // 00000000B3A0: D1130005 00010300
	v_add_u32_e32 v4, v4, v5                                   // 00000000B3A8: 68080B04
	v_lshlrev_b32_e32 v4, 2, v4                                // 00000000B3AC: 24080882
	v_add_u32_e32 v62, v62, v4                                 // 00000000B3B0: 687C093E
	v_add_u32_e32 v63, v63, v4                                 // 00000000B3B4: 687E093F
	v_add_u32_e32 v64, v64, v4                                 // 00000000B3B8: 68800940
	v_add_u32_e32 v65, v65, v4                                 // 00000000B3BC: 68820941
	v_add_u32_e32 v66, v66, v4                                 // 00000000B3C0: 68840942
	v_add_u32_e32 v67, v67, v4                                 // 00000000B3C4: 68860943
	v_add_u32_e32 v68, v68, v4                                 // 00000000B3C8: 68880944
	v_add_u32_e32 v69, v69, v4                                 // 00000000B3CC: 688A0945
	v_add_u32_e32 v70, v70, v4                                 // 00000000B3D0: 688C0946
	v_add_u32_e32 v71, v71, v4                                 // 00000000B3D4: 688E0947
	v_add_u32_e32 v72, v72, v4                                 // 00000000B3D8: 68900948
	v_add_u32_e32 v73, v73, v4                                 // 00000000B3DC: 68920949
	v_add_u32_e32 v74, v74, v4                                 // 00000000B3E0: 6894094A
	v_add_u32_e32 v75, v75, v4                                 // 00000000B3E4: 6896094B
	v_add_u32_e32 v76, v76, v4                                 // 00000000B3E8: 6898094C
	v_add_u32_e32 v77, v77, v4                                 // 00000000B3EC: 689A094D
	s_waitcnt lgkmcnt(0)                                       // 00000000B3F0: BF8CC07F
	s_barrier                                                  // 00000000B3F4: BF8A0000
	ds_read_b32 v80, v21                                       // 00000000B3F8: D86C0000 50000015
	ds_read_b32 v81, v21 offset:64                             // 00000000B400: D86C0040 51000015
	ds_read_b32 v82, v21 offset:2176                           // 00000000B408: D86C0880 52000015
	ds_read_b32 v83, v21 offset:2240                           // 00000000B410: D86C08C0 53000015
	ds_read_b32 v84, v21 offset:4352                           // 00000000B418: D86C1100 54000015
	ds_read_b32 v85, v21 offset:4416                           // 00000000B420: D86C1140 55000015
	ds_read_b32 v86, v21 offset:6528                           // 00000000B428: D86C1980 56000015
	ds_read_b32 v87, v21 offset:6592                           // 00000000B430: D86C19C0 57000015
	ds_read_b32 v88, v21 offset:8704                           // 00000000B438: D86C2200 58000015
	ds_read_b32 v89, v21 offset:8768                           // 00000000B440: D86C2240 59000015
	ds_read_b32 v90, v21 offset:10880                          // 00000000B448: D86C2A80 5A000015
	ds_read_b32 v91, v21 offset:10944                          // 00000000B450: D86C2AC0 5B000015
	ds_read_b32 v92, v21 offset:13056                          // 00000000B458: D86C3300 5C000015
	ds_read_b32 v93, v21 offset:13120                          // 00000000B460: D86C3340 5D000015
	ds_read_b32 v94, v21 offset:15232                          // 00000000B468: D86C3B80 5E000015
	ds_read_b32 v95, v21 offset:15296                          // 00000000B470: D86C3BC0 5F000015
	s_waitcnt lgkmcnt(0)                                       // 00000000B478: BF8CC07F
	s_mov_b32 s36, -1                                          // 00000000B47C: BEA400C1
	s_mov_b32 s37, -1                                          // 00000000B480: BEA500C1
	v_mov_b32_e32 v7, 0                                        // 00000000B484: 7E0E0280
	s_or_b32 s9, s9, 0x40000                                   // 00000000B488: 8709FF09 00040000
	s_mov_b64 exec, s[36:37]                                   // 00000000B490: BEFE0124
	v_mov_b32_e32 v6, v62                                      // 00000000B494: 7E0C033E
	s_mov_b64 s[60:61], 0                                      // 00000000B498: BEBC0180
	v_readlane_b32 s82, v3, 0                                  // 00000000B49C: D2890052 00010103
	s_and_b32 s82, s82, 0xffffff                               // 00000000B4A4: 8652FF52 00FFFFFF
	s_cmp_lt_u32 s82, s66                                      // 00000000B4AC: BF0A4252
	s_cselect_b32 s20, s36, s60                                // 00000000B4B0: 85143C24
	v_readlane_b32 s82, v3, 1                                  // 00000000B4B4: D2890052 00010303
	s_and_b32 s82, s82, 0xffffff                               // 00000000B4BC: 8652FF52 00FFFFFF
	s_cmp_lt_u32 s82, s66                                      // 00000000B4C4: BF0A4252
	s_cselect_b32 s21, s36, s60                                // 00000000B4C8: 85153C24
	s_mov_b64 exec, s[20:21]                                   // 00000000B4CC: BEFE0114
	buffer_store_dword v80, v6, s[8:11], 0 offen               // 00000000B4D0: E0701000 80025006
	s_mov_b64 exec, s[36:37]                                   // 00000000B4D8: BEFE0124
	v_mov_b32_e32 v6, v63                                      // 00000000B4DC: 7E0C033F
	s_mov_b64 s[60:61], 0                                      // 00000000B4E0: BEBC0180
	v_readlane_b32 s82, v3, 2                                  // 00000000B4E4: D2890052 00010503
	s_and_b32 s82, s82, 0xffffff                               // 00000000B4EC: 8652FF52 00FFFFFF
	s_cmp_lt_u32 s82, s66                                      // 00000000B4F4: BF0A4252
	s_cselect_b32 s20, s36, s60                                // 00000000B4F8: 85143C24
	v_readlane_b32 s82, v3, 3                                  // 00000000B4FC: D2890052 00010703
	s_and_b32 s82, s82, 0xffffff                               // 00000000B504: 8652FF52 00FFFFFF
	s_cmp_lt_u32 s82, s66                                      // 00000000B50C: BF0A4252
	s_cselect_b32 s21, s36, s60                                // 00000000B510: 85153C24
	s_mov_b64 exec, s[20:21]                                   // 00000000B514: BEFE0114
	buffer_store_dword v81, v6, s[8:11], 0 offen               // 00000000B518: E0701000 80025106
	s_mov_b64 exec, s[36:37]                                   // 00000000B520: BEFE0124
	v_mov_b32_e32 v6, v64                                      // 00000000B524: 7E0C0340
	s_mov_b64 s[60:61], 0                                      // 00000000B528: BEBC0180
	v_readlane_b32 s82, v3, 4                                  // 00000000B52C: D2890052 00010903
	s_and_b32 s82, s82, 0xffffff                               // 00000000B534: 8652FF52 00FFFFFF
	s_cmp_lt_u32 s82, s66                                      // 00000000B53C: BF0A4252
	s_cselect_b32 s20, s36, s60                                // 00000000B540: 85143C24
	v_readlane_b32 s82, v3, 5                                  // 00000000B544: D2890052 00010B03
	s_and_b32 s82, s82, 0xffffff                               // 00000000B54C: 8652FF52 00FFFFFF
	s_cmp_lt_u32 s82, s66                                      // 00000000B554: BF0A4252
	s_cselect_b32 s21, s36, s60                                // 00000000B558: 85153C24
	s_mov_b64 exec, s[20:21]                                   // 00000000B55C: BEFE0114
	buffer_store_dword v82, v6, s[8:11], 0 offen               // 00000000B560: E0701000 80025206
	s_mov_b64 exec, s[36:37]                                   // 00000000B568: BEFE0124
	v_mov_b32_e32 v6, v65                                      // 00000000B56C: 7E0C0341
	s_mov_b64 s[60:61], 0                                      // 00000000B570: BEBC0180
	v_readlane_b32 s82, v3, 6                                  // 00000000B574: D2890052 00010D03
	s_and_b32 s82, s82, 0xffffff                               // 00000000B57C: 8652FF52 00FFFFFF
	s_cmp_lt_u32 s82, s66                                      // 00000000B584: BF0A4252
	s_cselect_b32 s20, s36, s60                                // 00000000B588: 85143C24
	v_readlane_b32 s82, v3, 7                                  // 00000000B58C: D2890052 00010F03
	s_and_b32 s82, s82, 0xffffff                               // 00000000B594: 8652FF52 00FFFFFF
	s_cmp_lt_u32 s82, s66                                      // 00000000B59C: BF0A4252
	s_cselect_b32 s21, s36, s60                                // 00000000B5A0: 85153C24
	s_mov_b64 exec, s[20:21]                                   // 00000000B5A4: BEFE0114
	buffer_store_dword v83, v6, s[8:11], 0 offen               // 00000000B5A8: E0701000 80025306
	s_mov_b64 exec, s[36:37]                                   // 00000000B5B0: BEFE0124
	v_mov_b32_e32 v6, v66                                      // 00000000B5B4: 7E0C0342
	s_mov_b64 s[60:61], 0                                      // 00000000B5B8: BEBC0180
	v_readlane_b32 s82, v3, 8                                  // 00000000B5BC: D2890052 00011103
	s_and_b32 s82, s82, 0xffffff                               // 00000000B5C4: 8652FF52 00FFFFFF
	s_cmp_lt_u32 s82, s66                                      // 00000000B5CC: BF0A4252
	s_cselect_b32 s20, s36, s60                                // 00000000B5D0: 85143C24
	v_readlane_b32 s82, v3, 9                                  // 00000000B5D4: D2890052 00011303
	s_and_b32 s82, s82, 0xffffff                               // 00000000B5DC: 8652FF52 00FFFFFF
	s_cmp_lt_u32 s82, s66                                      // 00000000B5E4: BF0A4252
	s_cselect_b32 s21, s36, s60                                // 00000000B5E8: 85153C24
	s_mov_b64 exec, s[20:21]                                   // 00000000B5EC: BEFE0114
	buffer_store_dword v84, v6, s[8:11], 0 offen               // 00000000B5F0: E0701000 80025406
	s_mov_b64 exec, s[36:37]                                   // 00000000B5F8: BEFE0124
	v_mov_b32_e32 v6, v67                                      // 00000000B5FC: 7E0C0343
	s_mov_b64 s[60:61], 0                                      // 00000000B600: BEBC0180
	v_readlane_b32 s82, v3, 10                                 // 00000000B604: D2890052 00011503
	s_and_b32 s82, s82, 0xffffff                               // 00000000B60C: 8652FF52 00FFFFFF
	s_cmp_lt_u32 s82, s66                                      // 00000000B614: BF0A4252
	s_cselect_b32 s20, s36, s60                                // 00000000B618: 85143C24
	v_readlane_b32 s82, v3, 11                                 // 00000000B61C: D2890052 00011703
	s_and_b32 s82, s82, 0xffffff                               // 00000000B624: 8652FF52 00FFFFFF
	s_cmp_lt_u32 s82, s66                                      // 00000000B62C: BF0A4252
	s_cselect_b32 s21, s36, s60                                // 00000000B630: 85153C24
	s_mov_b64 exec, s[20:21]                                   // 00000000B634: BEFE0114
	buffer_store_dword v85, v6, s[8:11], 0 offen               // 00000000B638: E0701000 80025506
	s_mov_b64 exec, s[36:37]                                   // 00000000B640: BEFE0124
	v_mov_b32_e32 v6, v68                                      // 00000000B644: 7E0C0344
	s_mov_b64 s[60:61], 0                                      // 00000000B648: BEBC0180
	v_readlane_b32 s82, v3, 12                                 // 00000000B64C: D2890052 00011903
	s_and_b32 s82, s82, 0xffffff                               // 00000000B654: 8652FF52 00FFFFFF
	s_cmp_lt_u32 s82, s66                                      // 00000000B65C: BF0A4252
	s_cselect_b32 s20, s36, s60                                // 00000000B660: 85143C24
	v_readlane_b32 s82, v3, 13                                 // 00000000B664: D2890052 00011B03
	s_and_b32 s82, s82, 0xffffff                               // 00000000B66C: 8652FF52 00FFFFFF
	s_cmp_lt_u32 s82, s66                                      // 00000000B674: BF0A4252
	s_cselect_b32 s21, s36, s60                                // 00000000B678: 85153C24
	s_mov_b64 exec, s[20:21]                                   // 00000000B67C: BEFE0114
	buffer_store_dword v86, v6, s[8:11], 0 offen               // 00000000B680: E0701000 80025606
	s_mov_b64 exec, s[36:37]                                   // 00000000B688: BEFE0124
	v_mov_b32_e32 v6, v69                                      // 00000000B68C: 7E0C0345
	s_mov_b64 s[60:61], 0                                      // 00000000B690: BEBC0180
	v_readlane_b32 s82, v3, 14                                 // 00000000B694: D2890052 00011D03
	s_and_b32 s82, s82, 0xffffff                               // 00000000B69C: 8652FF52 00FFFFFF
	s_cmp_lt_u32 s82, s66                                      // 00000000B6A4: BF0A4252
	s_cselect_b32 s20, s36, s60                                // 00000000B6A8: 85143C24
	v_readlane_b32 s82, v3, 15                                 // 00000000B6AC: D2890052 00011F03
	s_and_b32 s82, s82, 0xffffff                               // 00000000B6B4: 8652FF52 00FFFFFF
	s_cmp_lt_u32 s82, s66                                      // 00000000B6BC: BF0A4252
	s_cselect_b32 s21, s36, s60                                // 00000000B6C0: 85153C24
	s_mov_b64 exec, s[20:21]                                   // 00000000B6C4: BEFE0114
	buffer_store_dword v87, v6, s[8:11], 0 offen               // 00000000B6C8: E0701000 80025706
	s_mov_b64 exec, s[36:37]                                   // 00000000B6D0: BEFE0124
	v_mov_b32_e32 v6, v70                                      // 00000000B6D4: 7E0C0346
	s_mov_b64 s[60:61], 0                                      // 00000000B6D8: BEBC0180
	v_readlane_b32 s82, v3, 16                                 // 00000000B6DC: D2890052 00012103
	s_and_b32 s82, s82, 0xffffff                               // 00000000B6E4: 8652FF52 00FFFFFF
	s_cmp_lt_u32 s82, s66                                      // 00000000B6EC: BF0A4252
	s_cselect_b32 s20, s36, s60                                // 00000000B6F0: 85143C24
	v_readlane_b32 s82, v3, 17                                 // 00000000B6F4: D2890052 00012303
	s_and_b32 s82, s82, 0xffffff                               // 00000000B6FC: 8652FF52 00FFFFFF
	s_cmp_lt_u32 s82, s66                                      // 00000000B704: BF0A4252
	s_cselect_b32 s21, s36, s60                                // 00000000B708: 85153C24
	s_mov_b64 exec, s[20:21]                                   // 00000000B70C: BEFE0114
	buffer_store_dword v88, v6, s[8:11], 0 offen               // 00000000B710: E0701000 80025806
	s_mov_b64 exec, s[36:37]                                   // 00000000B718: BEFE0124
	v_mov_b32_e32 v6, v71                                      // 00000000B71C: 7E0C0347
	s_mov_b64 s[60:61], 0                                      // 00000000B720: BEBC0180
	v_readlane_b32 s82, v3, 18                                 // 00000000B724: D2890052 00012503
	s_and_b32 s82, s82, 0xffffff                               // 00000000B72C: 8652FF52 00FFFFFF
	s_cmp_lt_u32 s82, s66                                      // 00000000B734: BF0A4252
	s_cselect_b32 s20, s36, s60                                // 00000000B738: 85143C24
	v_readlane_b32 s82, v3, 19                                 // 00000000B73C: D2890052 00012703
	s_and_b32 s82, s82, 0xffffff                               // 00000000B744: 8652FF52 00FFFFFF
	s_cmp_lt_u32 s82, s66                                      // 00000000B74C: BF0A4252
	s_cselect_b32 s21, s36, s60                                // 00000000B750: 85153C24
	s_mov_b64 exec, s[20:21]                                   // 00000000B754: BEFE0114
	buffer_store_dword v89, v6, s[8:11], 0 offen               // 00000000B758: E0701000 80025906
	s_mov_b64 exec, s[36:37]                                   // 00000000B760: BEFE0124
	v_mov_b32_e32 v6, v72                                      // 00000000B764: 7E0C0348
	s_mov_b64 s[60:61], 0                                      // 00000000B768: BEBC0180
	v_readlane_b32 s82, v3, 20                                 // 00000000B76C: D2890052 00012903
	s_and_b32 s82, s82, 0xffffff                               // 00000000B774: 8652FF52 00FFFFFF
	s_cmp_lt_u32 s82, s66                                      // 00000000B77C: BF0A4252
	s_cselect_b32 s20, s36, s60                                // 00000000B780: 85143C24
	v_readlane_b32 s82, v3, 21                                 // 00000000B784: D2890052 00012B03
	s_and_b32 s82, s82, 0xffffff                               // 00000000B78C: 8652FF52 00FFFFFF
	s_cmp_lt_u32 s82, s66                                      // 00000000B794: BF0A4252
	s_cselect_b32 s21, s36, s60                                // 00000000B798: 85153C24
	s_mov_b64 exec, s[20:21]                                   // 00000000B79C: BEFE0114
	buffer_store_dword v90, v6, s[8:11], 0 offen               // 00000000B7A0: E0701000 80025A06
	s_mov_b64 exec, s[36:37]                                   // 00000000B7A8: BEFE0124
	v_mov_b32_e32 v6, v73                                      // 00000000B7AC: 7E0C0349
	s_mov_b64 s[60:61], 0                                      // 00000000B7B0: BEBC0180
	v_readlane_b32 s82, v3, 22                                 // 00000000B7B4: D2890052 00012D03
	s_and_b32 s82, s82, 0xffffff                               // 00000000B7BC: 8652FF52 00FFFFFF
	s_cmp_lt_u32 s82, s66                                      // 00000000B7C4: BF0A4252
	s_cselect_b32 s20, s36, s60                                // 00000000B7C8: 85143C24
	v_readlane_b32 s82, v3, 23                                 // 00000000B7CC: D2890052 00012F03
	s_and_b32 s82, s82, 0xffffff                               // 00000000B7D4: 8652FF52 00FFFFFF
	s_cmp_lt_u32 s82, s66                                      // 00000000B7DC: BF0A4252
	s_cselect_b32 s21, s36, s60                                // 00000000B7E0: 85153C24
	s_mov_b64 exec, s[20:21]                                   // 00000000B7E4: BEFE0114
	buffer_store_dword v91, v6, s[8:11], 0 offen               // 00000000B7E8: E0701000 80025B06
	s_mov_b64 exec, s[36:37]                                   // 00000000B7F0: BEFE0124
	v_mov_b32_e32 v6, v74                                      // 00000000B7F4: 7E0C034A
	s_mov_b64 s[60:61], 0                                      // 00000000B7F8: BEBC0180
	v_readlane_b32 s82, v3, 24                                 // 00000000B7FC: D2890052 00013103
	s_and_b32 s82, s82, 0xffffff                               // 00000000B804: 8652FF52 00FFFFFF
	s_cmp_lt_u32 s82, s66                                      // 00000000B80C: BF0A4252
	s_cselect_b32 s20, s36, s60                                // 00000000B810: 85143C24
	v_readlane_b32 s82, v3, 25                                 // 00000000B814: D2890052 00013303
	s_and_b32 s82, s82, 0xffffff                               // 00000000B81C: 8652FF52 00FFFFFF
	s_cmp_lt_u32 s82, s66                                      // 00000000B824: BF0A4252
	s_cselect_b32 s21, s36, s60                                // 00000000B828: 85153C24
	s_mov_b64 exec, s[20:21]                                   // 00000000B82C: BEFE0114
	buffer_store_dword v92, v6, s[8:11], 0 offen               // 00000000B830: E0701000 80025C06
	s_mov_b64 exec, s[36:37]                                   // 00000000B838: BEFE0124
	v_mov_b32_e32 v6, v75                                      // 00000000B83C: 7E0C034B
	s_mov_b64 s[60:61], 0                                      // 00000000B840: BEBC0180
	v_readlane_b32 s82, v3, 26                                 // 00000000B844: D2890052 00013503
	s_and_b32 s82, s82, 0xffffff                               // 00000000B84C: 8652FF52 00FFFFFF
	s_cmp_lt_u32 s82, s66                                      // 00000000B854: BF0A4252
	s_cselect_b32 s20, s36, s60                                // 00000000B858: 85143C24
	v_readlane_b32 s82, v3, 27                                 // 00000000B85C: D2890052 00013703
	s_and_b32 s82, s82, 0xffffff                               // 00000000B864: 8652FF52 00FFFFFF
	s_cmp_lt_u32 s82, s66                                      // 00000000B86C: BF0A4252
	s_cselect_b32 s21, s36, s60                                // 00000000B870: 85153C24
	s_mov_b64 exec, s[20:21]                                   // 00000000B874: BEFE0114
	buffer_store_dword v93, v6, s[8:11], 0 offen               // 00000000B878: E0701000 80025D06
	s_mov_b64 exec, s[36:37]                                   // 00000000B880: BEFE0124
	v_mov_b32_e32 v6, v76                                      // 00000000B884: 7E0C034C
	s_mov_b64 s[60:61], 0                                      // 00000000B888: BEBC0180
	v_readlane_b32 s82, v3, 28                                 // 00000000B88C: D2890052 00013903
	s_and_b32 s82, s82, 0xffffff                               // 00000000B894: 8652FF52 00FFFFFF
	s_cmp_lt_u32 s82, s66                                      // 00000000B89C: BF0A4252
	s_cselect_b32 s20, s36, s60                                // 00000000B8A0: 85143C24
	v_readlane_b32 s82, v3, 29                                 // 00000000B8A4: D2890052 00013B03
	s_and_b32 s82, s82, 0xffffff                               // 00000000B8AC: 8652FF52 00FFFFFF
	s_cmp_lt_u32 s82, s66                                      // 00000000B8B4: BF0A4252
	s_cselect_b32 s21, s36, s60                                // 00000000B8B8: 85153C24
	s_mov_b64 exec, s[20:21]                                   // 00000000B8BC: BEFE0114
	buffer_store_dword v94, v6, s[8:11], 0 offen               // 00000000B8C0: E0701000 80025E06
	s_mov_b64 exec, s[36:37]                                   // 00000000B8C8: BEFE0124
	v_mov_b32_e32 v6, v77                                      // 00000000B8CC: 7E0C034D
	s_mov_b64 s[60:61], 0                                      // 00000000B8D0: BEBC0180
	v_readlane_b32 s82, v3, 30                                 // 00000000B8D4: D2890052 00013D03
	s_and_b32 s82, s82, 0xffffff                               // 00000000B8DC: 8652FF52 00FFFFFF
	s_cmp_lt_u32 s82, s66                                      // 00000000B8E4: BF0A4252
	s_cselect_b32 s20, s36, s60                                // 00000000B8E8: 85143C24
	v_readlane_b32 s82, v3, 31                                 // 00000000B8EC: D2890052 00013F03
	s_and_b32 s82, s82, 0xffffff                               // 00000000B8F4: 8652FF52 00FFFFFF
	s_cmp_lt_u32 s82, s66                                      // 00000000B8FC: BF0A4252
	s_cselect_b32 s21, s36, s60                                // 00000000B900: 85153C24
	s_mov_b64 exec, s[20:21]                                   // 00000000B904: BEFE0114
	buffer_store_dword v95, v6, s[8:11], 0 offen               // 00000000B908: E0701000 80025F06
	s_mov_b64 exec, s[36:37]                                   // 00000000B910: BEFE0124
	s_branch label_2A93                                        // 00000000B914: BF8206CA

000000000000b918 <label_23C9>:
	ds_write_b64 v20, v[80:81]                                 // 00000000B918: D89A0000 00005014
	ds_write_b64 v20, v[84:85] offset:2176                     // 00000000B920: D89A0880 00005414
	ds_write_b64 v20, v[88:89] offset:4352                     // 00000000B928: D89A1100 00005814
	ds_write_b64 v20, v[92:93] offset:6528                     // 00000000B930: D89A1980 00005C14
	ds_write_b64 v20, v[96:97] offset:8704                     // 00000000B938: D89A2200 00006014
	ds_write_b64 v20, v[100:101] offset:10880                  // 00000000B940: D89A2A80 00006414
	ds_write_b64 v20, v[104:105] offset:13056                  // 00000000B948: D89A3300 00006814
	ds_write_b64 v20, v[108:109] offset:15232                  // 00000000B950: D89A3B80 00006C14
	v_lshrrev_b32_e32 v4, 5, v0                                // 00000000B958: 20080085
	v_xor_b32_e32 v5, 1, v4                                    // 00000000B95C: 2A0A0881
	s_mul_i32 s60, s65, 2                                      // 00000000B960: 923C8241
	s_cmp_eq_u32 s88, 0                                        // 00000000B964: BF068058
	s_cselect_b32 s61, 1, 4                                    // 00000000B968: 853D8481
	s_mul_i32 s60, s61, s60                                    // 00000000B96C: 923C3C3D
	v_readlane_b32 s82, v3, 0                                  // 00000000B970: D2890052 00010103
	s_lshr_b32 s61, s82, 24                                    // 00000000B978: 8F3D9852
	s_and_b32 s82, s82, 0xffffff                               // 00000000B97C: 8652FF52 00FFFFFF
	s_mul_i32 s82, s82, s71                                    // 00000000B984: 92524752
	s_mul_i32 s61, s60, s61                                    // 00000000B988: 923D3D3C
	s_add_u32 s82, s82, s61                                    // 00000000B98C: 80523D52
	v_mul_lo_u32 v6, v5, s82                                   // 00000000B990: D2850006 0000A505
	v_readlane_b32 s82, v3, 1                                  // 00000000B998: D2890052 00010303
	s_lshr_b32 s61, s82, 24                                    // 00000000B9A0: 8F3D9852
	s_and_b32 s82, s82, 0xffffff                               // 00000000B9A4: 8652FF52 00FFFFFF
	s_mul_i32 s82, s82, s71                                    // 00000000B9AC: 92524752
	s_mul_i32 s61, s60, s61                                    // 00000000B9B0: 923D3D3C
	s_add_u32 s82, s82, s61                                    // 00000000B9B4: 80523D52
	v_mul_lo_u32 v7, v4, s82                                   // 00000000B9B8: D2850007 0000A504
	v_add_u32_e32 v62, v6, v7                                  // 00000000B9C0: 687C0F06
	v_readlane_b32 s82, v3, 2                                  // 00000000B9C4: D2890052 00010503
	s_lshr_b32 s61, s82, 24                                    // 00000000B9CC: 8F3D9852
	s_and_b32 s82, s82, 0xffffff                               // 00000000B9D0: 8652FF52 00FFFFFF
	s_mul_i32 s82, s82, s71                                    // 00000000B9D8: 92524752
	s_mul_i32 s61, s60, s61                                    // 00000000B9DC: 923D3D3C
	s_add_u32 s82, s82, s61                                    // 00000000B9E0: 80523D52
	v_mul_lo_u32 v6, v5, s82                                   // 00000000B9E4: D2850006 0000A505
	v_readlane_b32 s82, v3, 3                                  // 00000000B9EC: D2890052 00010703
	s_lshr_b32 s61, s82, 24                                    // 00000000B9F4: 8F3D9852
	s_and_b32 s82, s82, 0xffffff                               // 00000000B9F8: 8652FF52 00FFFFFF
	s_mul_i32 s82, s82, s71                                    // 00000000BA00: 92524752
	s_mul_i32 s61, s60, s61                                    // 00000000BA04: 923D3D3C
	s_add_u32 s82, s82, s61                                    // 00000000BA08: 80523D52
	v_mul_lo_u32 v7, v4, s82                                   // 00000000BA0C: D2850007 0000A504
	v_add_u32_e32 v63, v6, v7                                  // 00000000BA14: 687E0F06
	v_readlane_b32 s82, v3, 4                                  // 00000000BA18: D2890052 00010903
	s_lshr_b32 s61, s82, 24                                    // 00000000BA20: 8F3D9852
	s_and_b32 s82, s82, 0xffffff                               // 00000000BA24: 8652FF52 00FFFFFF
	s_mul_i32 s82, s82, s71                                    // 00000000BA2C: 92524752
	s_mul_i32 s61, s60, s61                                    // 00000000BA30: 923D3D3C
	s_add_u32 s82, s82, s61                                    // 00000000BA34: 80523D52
	v_mul_lo_u32 v6, v5, s82                                   // 00000000BA38: D2850006 0000A505
	v_readlane_b32 s82, v3, 5                                  // 00000000BA40: D2890052 00010B03
	s_lshr_b32 s61, s82, 24                                    // 00000000BA48: 8F3D9852
	s_and_b32 s82, s82, 0xffffff                               // 00000000BA4C: 8652FF52 00FFFFFF
	s_mul_i32 s82, s82, s71                                    // 00000000BA54: 92524752
	s_mul_i32 s61, s60, s61                                    // 00000000BA58: 923D3D3C
	s_add_u32 s82, s82, s61                                    // 00000000BA5C: 80523D52
	v_mul_lo_u32 v7, v4, s82                                   // 00000000BA60: D2850007 0000A504
	v_add_u32_e32 v64, v6, v7                                  // 00000000BA68: 68800F06
	v_readlane_b32 s82, v3, 6                                  // 00000000BA6C: D2890052 00010D03
	s_lshr_b32 s61, s82, 24                                    // 00000000BA74: 8F3D9852
	s_and_b32 s82, s82, 0xffffff                               // 00000000BA78: 8652FF52 00FFFFFF
	s_mul_i32 s82, s82, s71                                    // 00000000BA80: 92524752
	s_mul_i32 s61, s60, s61                                    // 00000000BA84: 923D3D3C
	s_add_u32 s82, s82, s61                                    // 00000000BA88: 80523D52
	v_mul_lo_u32 v6, v5, s82                                   // 00000000BA8C: D2850006 0000A505
	v_readlane_b32 s82, v3, 7                                  // 00000000BA94: D2890052 00010F03
	s_lshr_b32 s61, s82, 24                                    // 00000000BA9C: 8F3D9852
	s_and_b32 s82, s82, 0xffffff                               // 00000000BAA0: 8652FF52 00FFFFFF
	s_mul_i32 s82, s82, s71                                    // 00000000BAA8: 92524752
	s_mul_i32 s61, s60, s61                                    // 00000000BAAC: 923D3D3C
	s_add_u32 s82, s82, s61                                    // 00000000BAB0: 80523D52
	v_mul_lo_u32 v7, v4, s82                                   // 00000000BAB4: D2850007 0000A504
	v_add_u32_e32 v65, v6, v7                                  // 00000000BABC: 68820F06
	v_readlane_b32 s82, v3, 8                                  // 00000000BAC0: D2890052 00011103
	s_lshr_b32 s61, s82, 24                                    // 00000000BAC8: 8F3D9852
	s_and_b32 s82, s82, 0xffffff                               // 00000000BACC: 8652FF52 00FFFFFF
	s_mul_i32 s82, s82, s71                                    // 00000000BAD4: 92524752
	s_mul_i32 s61, s60, s61                                    // 00000000BAD8: 923D3D3C
	s_add_u32 s82, s82, s61                                    // 00000000BADC: 80523D52
	v_mul_lo_u32 v6, v5, s82                                   // 00000000BAE0: D2850006 0000A505
	v_readlane_b32 s82, v3, 9                                  // 00000000BAE8: D2890052 00011303
	s_lshr_b32 s61, s82, 24                                    // 00000000BAF0: 8F3D9852
	s_and_b32 s82, s82, 0xffffff                               // 00000000BAF4: 8652FF52 00FFFFFF
	s_mul_i32 s82, s82, s71                                    // 00000000BAFC: 92524752
	s_mul_i32 s61, s60, s61                                    // 00000000BB00: 923D3D3C
	s_add_u32 s82, s82, s61                                    // 00000000BB04: 80523D52
	v_mul_lo_u32 v7, v4, s82                                   // 00000000BB08: D2850007 0000A504
	v_add_u32_e32 v66, v6, v7                                  // 00000000BB10: 68840F06
	v_readlane_b32 s82, v3, 10                                 // 00000000BB14: D2890052 00011503
	s_lshr_b32 s61, s82, 24                                    // 00000000BB1C: 8F3D9852
	s_and_b32 s82, s82, 0xffffff                               // 00000000BB20: 8652FF52 00FFFFFF
	s_mul_i32 s82, s82, s71                                    // 00000000BB28: 92524752
	s_mul_i32 s61, s60, s61                                    // 00000000BB2C: 923D3D3C
	s_add_u32 s82, s82, s61                                    // 00000000BB30: 80523D52
	v_mul_lo_u32 v6, v5, s82                                   // 00000000BB34: D2850006 0000A505
	v_readlane_b32 s82, v3, 11                                 // 00000000BB3C: D2890052 00011703
	s_lshr_b32 s61, s82, 24                                    // 00000000BB44: 8F3D9852
	s_and_b32 s82, s82, 0xffffff                               // 00000000BB48: 8652FF52 00FFFFFF
	s_mul_i32 s82, s82, s71                                    // 00000000BB50: 92524752
	s_mul_i32 s61, s60, s61                                    // 00000000BB54: 923D3D3C
	s_add_u32 s82, s82, s61                                    // 00000000BB58: 80523D52
	v_mul_lo_u32 v7, v4, s82                                   // 00000000BB5C: D2850007 0000A504
	v_add_u32_e32 v67, v6, v7                                  // 00000000BB64: 68860F06
	v_readlane_b32 s82, v3, 12                                 // 00000000BB68: D2890052 00011903
	s_lshr_b32 s61, s82, 24                                    // 00000000BB70: 8F3D9852
	s_and_b32 s82, s82, 0xffffff                               // 00000000BB74: 8652FF52 00FFFFFF
	s_mul_i32 s82, s82, s71                                    // 00000000BB7C: 92524752
	s_mul_i32 s61, s60, s61                                    // 00000000BB80: 923D3D3C
	s_add_u32 s82, s82, s61                                    // 00000000BB84: 80523D52
	v_mul_lo_u32 v6, v5, s82                                   // 00000000BB88: D2850006 0000A505
	v_readlane_b32 s82, v3, 13                                 // 00000000BB90: D2890052 00011B03
	s_lshr_b32 s61, s82, 24                                    // 00000000BB98: 8F3D9852
	s_and_b32 s82, s82, 0xffffff                               // 00000000BB9C: 8652FF52 00FFFFFF
	s_mul_i32 s82, s82, s71                                    // 00000000BBA4: 92524752
	s_mul_i32 s61, s60, s61                                    // 00000000BBA8: 923D3D3C
	s_add_u32 s82, s82, s61                                    // 00000000BBAC: 80523D52
	v_mul_lo_u32 v7, v4, s82                                   // 00000000BBB0: D2850007 0000A504
	v_add_u32_e32 v68, v6, v7                                  // 00000000BBB8: 68880F06
	v_readlane_b32 s82, v3, 14                                 // 00000000BBBC: D2890052 00011D03
	s_lshr_b32 s61, s82, 24                                    // 00000000BBC4: 8F3D9852
	s_and_b32 s82, s82, 0xffffff                               // 00000000BBC8: 8652FF52 00FFFFFF
	s_mul_i32 s82, s82, s71                                    // 00000000BBD0: 92524752
	s_mul_i32 s61, s60, s61                                    // 00000000BBD4: 923D3D3C
	s_add_u32 s82, s82, s61                                    // 00000000BBD8: 80523D52
	v_mul_lo_u32 v6, v5, s82                                   // 00000000BBDC: D2850006 0000A505
	v_readlane_b32 s82, v3, 15                                 // 00000000BBE4: D2890052 00011F03
	s_lshr_b32 s61, s82, 24                                    // 00000000BBEC: 8F3D9852
	s_and_b32 s82, s82, 0xffffff                               // 00000000BBF0: 8652FF52 00FFFFFF
	s_mul_i32 s82, s82, s71                                    // 00000000BBF8: 92524752
	s_mul_i32 s61, s60, s61                                    // 00000000BBFC: 923D3D3C
	s_add_u32 s82, s82, s61                                    // 00000000BC00: 80523D52
	v_mul_lo_u32 v7, v4, s82                                   // 00000000BC04: D2850007 0000A504
	v_add_u32_e32 v69, v6, v7                                  // 00000000BC0C: 688A0F06
	v_readlane_b32 s82, v3, 16                                 // 00000000BC10: D2890052 00012103
	s_lshr_b32 s61, s82, 24                                    // 00000000BC18: 8F3D9852
	s_and_b32 s82, s82, 0xffffff                               // 00000000BC1C: 8652FF52 00FFFFFF
	s_mul_i32 s82, s82, s71                                    // 00000000BC24: 92524752
	s_mul_i32 s61, s60, s61                                    // 00000000BC28: 923D3D3C
	s_add_u32 s82, s82, s61                                    // 00000000BC2C: 80523D52
	v_mul_lo_u32 v6, v5, s82                                   // 00000000BC30: D2850006 0000A505
	v_readlane_b32 s82, v3, 17                                 // 00000000BC38: D2890052 00012303
	s_lshr_b32 s61, s82, 24                                    // 00000000BC40: 8F3D9852
	s_and_b32 s82, s82, 0xffffff                               // 00000000BC44: 8652FF52 00FFFFFF
	s_mul_i32 s82, s82, s71                                    // 00000000BC4C: 92524752
	s_mul_i32 s61, s60, s61                                    // 00000000BC50: 923D3D3C
	s_add_u32 s82, s82, s61                                    // 00000000BC54: 80523D52
	v_mul_lo_u32 v7, v4, s82                                   // 00000000BC58: D2850007 0000A504
	v_add_u32_e32 v70, v6, v7                                  // 00000000BC60: 688C0F06
	v_readlane_b32 s82, v3, 18                                 // 00000000BC64: D2890052 00012503
	s_lshr_b32 s61, s82, 24                                    // 00000000BC6C: 8F3D9852
	s_and_b32 s82, s82, 0xffffff                               // 00000000BC70: 8652FF52 00FFFFFF
	s_mul_i32 s82, s82, s71                                    // 00000000BC78: 92524752
	s_mul_i32 s61, s60, s61                                    // 00000000BC7C: 923D3D3C
	s_add_u32 s82, s82, s61                                    // 00000000BC80: 80523D52
	v_mul_lo_u32 v6, v5, s82                                   // 00000000BC84: D2850006 0000A505
	v_readlane_b32 s82, v3, 19                                 // 00000000BC8C: D2890052 00012703
	s_lshr_b32 s61, s82, 24                                    // 00000000BC94: 8F3D9852
	s_and_b32 s82, s82, 0xffffff                               // 00000000BC98: 8652FF52 00FFFFFF
	s_mul_i32 s82, s82, s71                                    // 00000000BCA0: 92524752
	s_mul_i32 s61, s60, s61                                    // 00000000BCA4: 923D3D3C
	s_add_u32 s82, s82, s61                                    // 00000000BCA8: 80523D52
	v_mul_lo_u32 v7, v4, s82                                   // 00000000BCAC: D2850007 0000A504
	v_add_u32_e32 v71, v6, v7                                  // 00000000BCB4: 688E0F06
	v_readlane_b32 s82, v3, 20                                 // 00000000BCB8: D2890052 00012903
	s_lshr_b32 s61, s82, 24                                    // 00000000BCC0: 8F3D9852
	s_and_b32 s82, s82, 0xffffff                               // 00000000BCC4: 8652FF52 00FFFFFF
	s_mul_i32 s82, s82, s71                                    // 00000000BCCC: 92524752
	s_mul_i32 s61, s60, s61                                    // 00000000BCD0: 923D3D3C
	s_add_u32 s82, s82, s61                                    // 00000000BCD4: 80523D52
	v_mul_lo_u32 v6, v5, s82                                   // 00000000BCD8: D2850006 0000A505
	v_readlane_b32 s82, v3, 21                                 // 00000000BCE0: D2890052 00012B03
	s_lshr_b32 s61, s82, 24                                    // 00000000BCE8: 8F3D9852
	s_and_b32 s82, s82, 0xffffff                               // 00000000BCEC: 8652FF52 00FFFFFF
	s_mul_i32 s82, s82, s71                                    // 00000000BCF4: 92524752
	s_mul_i32 s61, s60, s61                                    // 00000000BCF8: 923D3D3C
	s_add_u32 s82, s82, s61                                    // 00000000BCFC: 80523D52
	v_mul_lo_u32 v7, v4, s82                                   // 00000000BD00: D2850007 0000A504
	v_add_u32_e32 v72, v6, v7                                  // 00000000BD08: 68900F06
	v_readlane_b32 s82, v3, 22                                 // 00000000BD0C: D2890052 00012D03
	s_lshr_b32 s61, s82, 24                                    // 00000000BD14: 8F3D9852
	s_and_b32 s82, s82, 0xffffff                               // 00000000BD18: 8652FF52 00FFFFFF
	s_mul_i32 s82, s82, s71                                    // 00000000BD20: 92524752
	s_mul_i32 s61, s60, s61                                    // 00000000BD24: 923D3D3C
	s_add_u32 s82, s82, s61                                    // 00000000BD28: 80523D52
	v_mul_lo_u32 v6, v5, s82                                   // 00000000BD2C: D2850006 0000A505
	v_readlane_b32 s82, v3, 23                                 // 00000000BD34: D2890052 00012F03
	s_lshr_b32 s61, s82, 24                                    // 00000000BD3C: 8F3D9852
	s_and_b32 s82, s82, 0xffffff                               // 00000000BD40: 8652FF52 00FFFFFF
	s_mul_i32 s82, s82, s71                                    // 00000000BD48: 92524752
	s_mul_i32 s61, s60, s61                                    // 00000000BD4C: 923D3D3C
	s_add_u32 s82, s82, s61                                    // 00000000BD50: 80523D52
	v_mul_lo_u32 v7, v4, s82                                   // 00000000BD54: D2850007 0000A504
	v_add_u32_e32 v73, v6, v7                                  // 00000000BD5C: 68920F06
	v_readlane_b32 s82, v3, 24                                 // 00000000BD60: D2890052 00013103
	s_lshr_b32 s61, s82, 24                                    // 00000000BD68: 8F3D9852
	s_and_b32 s82, s82, 0xffffff                               // 00000000BD6C: 8652FF52 00FFFFFF
	s_mul_i32 s82, s82, s71                                    // 00000000BD74: 92524752
	s_mul_i32 s61, s60, s61                                    // 00000000BD78: 923D3D3C
	s_add_u32 s82, s82, s61                                    // 00000000BD7C: 80523D52
	v_mul_lo_u32 v6, v5, s82                                   // 00000000BD80: D2850006 0000A505
	v_readlane_b32 s82, v3, 25                                 // 00000000BD88: D2890052 00013303
	s_lshr_b32 s61, s82, 24                                    // 00000000BD90: 8F3D9852
	s_and_b32 s82, s82, 0xffffff                               // 00000000BD94: 8652FF52 00FFFFFF
	s_mul_i32 s82, s82, s71                                    // 00000000BD9C: 92524752
	s_mul_i32 s61, s60, s61                                    // 00000000BDA0: 923D3D3C
	s_add_u32 s82, s82, s61                                    // 00000000BDA4: 80523D52
	v_mul_lo_u32 v7, v4, s82                                   // 00000000BDA8: D2850007 0000A504
	v_add_u32_e32 v74, v6, v7                                  // 00000000BDB0: 68940F06
	v_readlane_b32 s82, v3, 26                                 // 00000000BDB4: D2890052 00013503
	s_lshr_b32 s61, s82, 24                                    // 00000000BDBC: 8F3D9852
	s_and_b32 s82, s82, 0xffffff                               // 00000000BDC0: 8652FF52 00FFFFFF
	s_mul_i32 s82, s82, s71                                    // 00000000BDC8: 92524752
	s_mul_i32 s61, s60, s61                                    // 00000000BDCC: 923D3D3C
	s_add_u32 s82, s82, s61                                    // 00000000BDD0: 80523D52
	v_mul_lo_u32 v6, v5, s82                                   // 00000000BDD4: D2850006 0000A505
	v_readlane_b32 s82, v3, 27                                 // 00000000BDDC: D2890052 00013703
	s_lshr_b32 s61, s82, 24                                    // 00000000BDE4: 8F3D9852
	s_and_b32 s82, s82, 0xffffff                               // 00000000BDE8: 8652FF52 00FFFFFF
	s_mul_i32 s82, s82, s71                                    // 00000000BDF0: 92524752
	s_mul_i32 s61, s60, s61                                    // 00000000BDF4: 923D3D3C
	s_add_u32 s82, s82, s61                                    // 00000000BDF8: 80523D52
	v_mul_lo_u32 v7, v4, s82                                   // 00000000BDFC: D2850007 0000A504
	v_add_u32_e32 v75, v6, v7                                  // 00000000BE04: 68960F06
	v_readlane_b32 s82, v3, 28                                 // 00000000BE08: D2890052 00013903
	s_lshr_b32 s61, s82, 24                                    // 00000000BE10: 8F3D9852
	s_and_b32 s82, s82, 0xffffff                               // 00000000BE14: 8652FF52 00FFFFFF
	s_mul_i32 s82, s82, s71                                    // 00000000BE1C: 92524752
	s_mul_i32 s61, s60, s61                                    // 00000000BE20: 923D3D3C
	s_add_u32 s82, s82, s61                                    // 00000000BE24: 80523D52
	v_mul_lo_u32 v6, v5, s82                                   // 00000000BE28: D2850006 0000A505
	v_readlane_b32 s82, v3, 29                                 // 00000000BE30: D2890052 00013B03
	s_lshr_b32 s61, s82, 24                                    // 00000000BE38: 8F3D9852
	s_and_b32 s82, s82, 0xffffff                               // 00000000BE3C: 8652FF52 00FFFFFF
	s_mul_i32 s82, s82, s71                                    // 00000000BE44: 92524752
	s_mul_i32 s61, s60, s61                                    // 00000000BE48: 923D3D3C
	s_add_u32 s82, s82, s61                                    // 00000000BE4C: 80523D52
	v_mul_lo_u32 v7, v4, s82                                   // 00000000BE50: D2850007 0000A504
	v_add_u32_e32 v76, v6, v7                                  // 00000000BE58: 68980F06
	v_readlane_b32 s82, v3, 30                                 // 00000000BE5C: D2890052 00013D03
	s_lshr_b32 s61, s82, 24                                    // 00000000BE64: 8F3D9852
	s_and_b32 s82, s82, 0xffffff                               // 00000000BE68: 8652FF52 00FFFFFF
	s_mul_i32 s82, s82, s71                                    // 00000000BE70: 92524752
	s_mul_i32 s61, s60, s61                                    // 00000000BE74: 923D3D3C
	s_add_u32 s82, s82, s61                                    // 00000000BE78: 80523D52
	v_mul_lo_u32 v6, v5, s82                                   // 00000000BE7C: D2850006 0000A505
	v_readlane_b32 s82, v3, 31                                 // 00000000BE84: D2890052 00013F03
	s_lshr_b32 s61, s82, 24                                    // 00000000BE8C: 8F3D9852
	s_and_b32 s82, s82, 0xffffff                               // 00000000BE90: 8652FF52 00FFFFFF
	s_mul_i32 s82, s82, s71                                    // 00000000BE98: 92524752
	s_mul_i32 s61, s60, s61                                    // 00000000BE9C: 923D3D3C
	s_add_u32 s82, s82, s61                                    // 00000000BEA0: 80523D52
	v_mul_lo_u32 v7, v4, s82                                   // 00000000BEA4: D2850007 0000A504
	v_add_u32_e32 v77, v6, v7                                  // 00000000BEAC: 689A0F06
	v_and_b32_e32 v4, 31, v0                                   // 00000000BEB0: 2608009F
	v_lshrrev_b32_e32 v4, 1, v4                                // 00000000BEB4: 20080881
	s_cmp_eq_u32 s88, 0                                        // 00000000BEB8: BF068058
	s_cselect_b32 s61, 2, 4                                    // 00000000BEBC: 853D8482
	v_mul_lo_u32 v4, v4, s61                                   // 00000000BEC0: D2850004 00007B04
	v_and_b32_e64 v5, v0, 1                                    // 00000000BEC8: D1130005 00010300
	v_add_u32_e32 v4, v4, v5                                   // 00000000BED0: 68080B04
	v_lshlrev_b32_e32 v4, 2, v4                                // 00000000BED4: 24080882
	v_add_u32_e32 v62, v62, v4                                 // 00000000BED8: 687C093E
	v_add_u32_e32 v63, v63, v4                                 // 00000000BEDC: 687E093F
	v_add_u32_e32 v64, v64, v4                                 // 00000000BEE0: 68800940
	v_add_u32_e32 v65, v65, v4                                 // 00000000BEE4: 68820941
	v_add_u32_e32 v66, v66, v4                                 // 00000000BEE8: 68840942
	v_add_u32_e32 v67, v67, v4                                 // 00000000BEEC: 68860943
	v_add_u32_e32 v68, v68, v4                                 // 00000000BEF0: 68880944
	v_add_u32_e32 v69, v69, v4                                 // 00000000BEF4: 688A0945
	v_add_u32_e32 v70, v70, v4                                 // 00000000BEF8: 688C0946
	v_add_u32_e32 v71, v71, v4                                 // 00000000BEFC: 688E0947
	v_add_u32_e32 v72, v72, v4                                 // 00000000BF00: 68900948
	v_add_u32_e32 v73, v73, v4                                 // 00000000BF04: 68920949
	v_add_u32_e32 v74, v74, v4                                 // 00000000BF08: 6894094A
	v_add_u32_e32 v75, v75, v4                                 // 00000000BF0C: 6896094B
	v_add_u32_e32 v76, v76, v4                                 // 00000000BF10: 6898094C
	v_add_u32_e32 v77, v77, v4                                 // 00000000BF14: 689A094D
	s_waitcnt lgkmcnt(0)                                       // 00000000BF18: BF8CC07F
	s_barrier                                                  // 00000000BF1C: BF8A0000
	ds_read_b32 v80, v21                                       // 00000000BF20: D86C0000 50000015
	ds_read_b32 v81, v21 offset:64                             // 00000000BF28: D86C0040 51000015
	ds_read_b32 v84, v21 offset:2176                           // 00000000BF30: D86C0880 54000015
	ds_read_b32 v85, v21 offset:2240                           // 00000000BF38: D86C08C0 55000015
	ds_read_b32 v88, v21 offset:4352                           // 00000000BF40: D86C1100 58000015
	ds_read_b32 v89, v21 offset:4416                           // 00000000BF48: D86C1140 59000015
	ds_read_b32 v92, v21 offset:6528                           // 00000000BF50: D86C1980 5C000015
	ds_read_b32 v93, v21 offset:6592                           // 00000000BF58: D86C19C0 5D000015
	ds_read_b32 v96, v21 offset:8704                           // 00000000BF60: D86C2200 60000015
	ds_read_b32 v97, v21 offset:8768                           // 00000000BF68: D86C2240 61000015
	ds_read_b32 v100, v21 offset:10880                         // 00000000BF70: D86C2A80 64000015
	ds_read_b32 v101, v21 offset:10944                         // 00000000BF78: D86C2AC0 65000015
	ds_read_b32 v104, v21 offset:13056                         // 00000000BF80: D86C3300 68000015
	ds_read_b32 v105, v21 offset:13120                         // 00000000BF88: D86C3340 69000015
	ds_read_b32 v108, v21 offset:15232                         // 00000000BF90: D86C3B80 6C000015
	ds_read_b32 v109, v21 offset:15296                         // 00000000BF98: D86C3BC0 6D000015
	s_waitcnt lgkmcnt(0)                                       // 00000000BFA0: BF8CC07F
	s_mov_b32 s36, -1                                          // 00000000BFA4: BEA400C1
	s_mov_b32 s37, -1                                          // 00000000BFA8: BEA500C1
	v_mov_b32_e32 v7, 0                                        // 00000000BFAC: 7E0E0280
	s_mov_b64 exec, s[36:37]                                   // 00000000BFB0: BEFE0124
	v_mov_b32_e32 v6, v62                                      // 00000000BFB4: 7E0C033E
	s_mov_b64 s[60:61], 0                                      // 00000000BFB8: BEBC0180
	v_readlane_b32 s82, v3, 0                                  // 00000000BFBC: D2890052 00010103
	s_and_b32 s82, s82, 0xffffff                               // 00000000BFC4: 8652FF52 00FFFFFF
	s_cmp_lt_u32 s82, s66                                      // 00000000BFCC: BF0A4252
	s_cselect_b32 s20, s36, s60                                // 00000000BFD0: 85143C24
	v_readlane_b32 s82, v3, 1                                  // 00000000BFD4: D2890052 00010303
	s_and_b32 s82, s82, 0xffffff                               // 00000000BFDC: 8652FF52 00FFFFFF
	s_cmp_lt_u32 s82, s66                                      // 00000000BFE4: BF0A4252
	s_cselect_b32 s21, s36, s60                                // 00000000BFE8: 85153C24
	s_mov_b64 exec, s[20:21]                                   // 00000000BFEC: BEFE0114
	global_atomic_add_f32 v6, v80, s[8:9]                      // 00000000BFF0: DD348000 00085006
	s_mov_b64 exec, s[36:37]                                   // 00000000BFF8: BEFE0124
	v_mov_b32_e32 v6, v63                                      // 00000000BFFC: 7E0C033F
	s_mov_b64 s[60:61], 0                                      // 00000000C000: BEBC0180
	v_readlane_b32 s82, v3, 2                                  // 00000000C004: D2890052 00010503
	s_and_b32 s82, s82, 0xffffff                               // 00000000C00C: 8652FF52 00FFFFFF
	s_cmp_lt_u32 s82, s66                                      // 00000000C014: BF0A4252
	s_cselect_b32 s20, s36, s60                                // 00000000C018: 85143C24
	v_readlane_b32 s82, v3, 3                                  // 00000000C01C: D2890052 00010703
	s_and_b32 s82, s82, 0xffffff                               // 00000000C024: 8652FF52 00FFFFFF
	s_cmp_lt_u32 s82, s66                                      // 00000000C02C: BF0A4252
	s_cselect_b32 s21, s36, s60                                // 00000000C030: 85153C24
	s_mov_b64 exec, s[20:21]                                   // 00000000C034: BEFE0114
	global_atomic_add_f32 v6, v81, s[8:9]                      // 00000000C038: DD348000 00085106
	s_mov_b64 exec, s[36:37]                                   // 00000000C040: BEFE0124
	v_mov_b32_e32 v6, v64                                      // 00000000C044: 7E0C0340
	s_mov_b64 s[60:61], 0                                      // 00000000C048: BEBC0180
	v_readlane_b32 s82, v3, 4                                  // 00000000C04C: D2890052 00010903
	s_and_b32 s82, s82, 0xffffff                               // 00000000C054: 8652FF52 00FFFFFF
	s_cmp_lt_u32 s82, s66                                      // 00000000C05C: BF0A4252
	s_cselect_b32 s20, s36, s60                                // 00000000C060: 85143C24
	v_readlane_b32 s82, v3, 5                                  // 00000000C064: D2890052 00010B03
	s_and_b32 s82, s82, 0xffffff                               // 00000000C06C: 8652FF52 00FFFFFF
	s_cmp_lt_u32 s82, s66                                      // 00000000C074: BF0A4252
	s_cselect_b32 s21, s36, s60                                // 00000000C078: 85153C24
	s_mov_b64 exec, s[20:21]                                   // 00000000C07C: BEFE0114
	global_atomic_add_f32 v6, v84, s[8:9]                      // 00000000C080: DD348000 00085406
	s_mov_b64 exec, s[36:37]                                   // 00000000C088: BEFE0124
	v_mov_b32_e32 v6, v65                                      // 00000000C08C: 7E0C0341
	s_mov_b64 s[60:61], 0                                      // 00000000C090: BEBC0180
	v_readlane_b32 s82, v3, 6                                  // 00000000C094: D2890052 00010D03
	s_and_b32 s82, s82, 0xffffff                               // 00000000C09C: 8652FF52 00FFFFFF
	s_cmp_lt_u32 s82, s66                                      // 00000000C0A4: BF0A4252
	s_cselect_b32 s20, s36, s60                                // 00000000C0A8: 85143C24
	v_readlane_b32 s82, v3, 7                                  // 00000000C0AC: D2890052 00010F03
	s_and_b32 s82, s82, 0xffffff                               // 00000000C0B4: 8652FF52 00FFFFFF
	s_cmp_lt_u32 s82, s66                                      // 00000000C0BC: BF0A4252
	s_cselect_b32 s21, s36, s60                                // 00000000C0C0: 85153C24
	s_mov_b64 exec, s[20:21]                                   // 00000000C0C4: BEFE0114
	global_atomic_add_f32 v6, v85, s[8:9]                      // 00000000C0C8: DD348000 00085506
	s_mov_b64 exec, s[36:37]                                   // 00000000C0D0: BEFE0124
	v_mov_b32_e32 v6, v66                                      // 00000000C0D4: 7E0C0342
	s_mov_b64 s[60:61], 0                                      // 00000000C0D8: BEBC0180
	v_readlane_b32 s82, v3, 8                                  // 00000000C0DC: D2890052 00011103
	s_and_b32 s82, s82, 0xffffff                               // 00000000C0E4: 8652FF52 00FFFFFF
	s_cmp_lt_u32 s82, s66                                      // 00000000C0EC: BF0A4252
	s_cselect_b32 s20, s36, s60                                // 00000000C0F0: 85143C24
	v_readlane_b32 s82, v3, 9                                  // 00000000C0F4: D2890052 00011303
	s_and_b32 s82, s82, 0xffffff                               // 00000000C0FC: 8652FF52 00FFFFFF
	s_cmp_lt_u32 s82, s66                                      // 00000000C104: BF0A4252
	s_cselect_b32 s21, s36, s60                                // 00000000C108: 85153C24
	s_mov_b64 exec, s[20:21]                                   // 00000000C10C: BEFE0114
	global_atomic_add_f32 v6, v88, s[8:9]                      // 00000000C110: DD348000 00085806
	s_mov_b64 exec, s[36:37]                                   // 00000000C118: BEFE0124
	v_mov_b32_e32 v6, v67                                      // 00000000C11C: 7E0C0343
	s_mov_b64 s[60:61], 0                                      // 00000000C120: BEBC0180
	v_readlane_b32 s82, v3, 10                                 // 00000000C124: D2890052 00011503
	s_and_b32 s82, s82, 0xffffff                               // 00000000C12C: 8652FF52 00FFFFFF
	s_cmp_lt_u32 s82, s66                                      // 00000000C134: BF0A4252
	s_cselect_b32 s20, s36, s60                                // 00000000C138: 85143C24
	v_readlane_b32 s82, v3, 11                                 // 00000000C13C: D2890052 00011703
	s_and_b32 s82, s82, 0xffffff                               // 00000000C144: 8652FF52 00FFFFFF
	s_cmp_lt_u32 s82, s66                                      // 00000000C14C: BF0A4252
	s_cselect_b32 s21, s36, s60                                // 00000000C150: 85153C24
	s_mov_b64 exec, s[20:21]                                   // 00000000C154: BEFE0114
	global_atomic_add_f32 v6, v89, s[8:9]                      // 00000000C158: DD348000 00085906
	s_mov_b64 exec, s[36:37]                                   // 00000000C160: BEFE0124
	v_mov_b32_e32 v6, v68                                      // 00000000C164: 7E0C0344
	s_mov_b64 s[60:61], 0                                      // 00000000C168: BEBC0180
	v_readlane_b32 s82, v3, 12                                 // 00000000C16C: D2890052 00011903
	s_and_b32 s82, s82, 0xffffff                               // 00000000C174: 8652FF52 00FFFFFF
	s_cmp_lt_u32 s82, s66                                      // 00000000C17C: BF0A4252
	s_cselect_b32 s20, s36, s60                                // 00000000C180: 85143C24
	v_readlane_b32 s82, v3, 13                                 // 00000000C184: D2890052 00011B03
	s_and_b32 s82, s82, 0xffffff                               // 00000000C18C: 8652FF52 00FFFFFF
	s_cmp_lt_u32 s82, s66                                      // 00000000C194: BF0A4252
	s_cselect_b32 s21, s36, s60                                // 00000000C198: 85153C24
	s_mov_b64 exec, s[20:21]                                   // 00000000C19C: BEFE0114
	global_atomic_add_f32 v6, v92, s[8:9]                      // 00000000C1A0: DD348000 00085C06
	s_mov_b64 exec, s[36:37]                                   // 00000000C1A8: BEFE0124
	v_mov_b32_e32 v6, v69                                      // 00000000C1AC: 7E0C0345
	s_mov_b64 s[60:61], 0                                      // 00000000C1B0: BEBC0180
	v_readlane_b32 s82, v3, 14                                 // 00000000C1B4: D2890052 00011D03
	s_and_b32 s82, s82, 0xffffff                               // 00000000C1BC: 8652FF52 00FFFFFF
	s_cmp_lt_u32 s82, s66                                      // 00000000C1C4: BF0A4252
	s_cselect_b32 s20, s36, s60                                // 00000000C1C8: 85143C24
	v_readlane_b32 s82, v3, 15                                 // 00000000C1CC: D2890052 00011F03
	s_and_b32 s82, s82, 0xffffff                               // 00000000C1D4: 8652FF52 00FFFFFF
	s_cmp_lt_u32 s82, s66                                      // 00000000C1DC: BF0A4252
	s_cselect_b32 s21, s36, s60                                // 00000000C1E0: 85153C24
	s_mov_b64 exec, s[20:21]                                   // 00000000C1E4: BEFE0114
	global_atomic_add_f32 v6, v93, s[8:9]                      // 00000000C1E8: DD348000 00085D06
	s_mov_b64 exec, s[36:37]                                   // 00000000C1F0: BEFE0124
	v_mov_b32_e32 v6, v70                                      // 00000000C1F4: 7E0C0346
	s_mov_b64 s[60:61], 0                                      // 00000000C1F8: BEBC0180
	v_readlane_b32 s82, v3, 16                                 // 00000000C1FC: D2890052 00012103
	s_and_b32 s82, s82, 0xffffff                               // 00000000C204: 8652FF52 00FFFFFF
	s_cmp_lt_u32 s82, s66                                      // 00000000C20C: BF0A4252
	s_cselect_b32 s20, s36, s60                                // 00000000C210: 85143C24
	v_readlane_b32 s82, v3, 17                                 // 00000000C214: D2890052 00012303
	s_and_b32 s82, s82, 0xffffff                               // 00000000C21C: 8652FF52 00FFFFFF
	s_cmp_lt_u32 s82, s66                                      // 00000000C224: BF0A4252
	s_cselect_b32 s21, s36, s60                                // 00000000C228: 85153C24
	s_mov_b64 exec, s[20:21]                                   // 00000000C22C: BEFE0114
	global_atomic_add_f32 v6, v96, s[8:9]                      // 00000000C230: DD348000 00086006
	s_mov_b64 exec, s[36:37]                                   // 00000000C238: BEFE0124
	v_mov_b32_e32 v6, v71                                      // 00000000C23C: 7E0C0347
	s_mov_b64 s[60:61], 0                                      // 00000000C240: BEBC0180
	v_readlane_b32 s82, v3, 18                                 // 00000000C244: D2890052 00012503
	s_and_b32 s82, s82, 0xffffff                               // 00000000C24C: 8652FF52 00FFFFFF
	s_cmp_lt_u32 s82, s66                                      // 00000000C254: BF0A4252
	s_cselect_b32 s20, s36, s60                                // 00000000C258: 85143C24
	v_readlane_b32 s82, v3, 19                                 // 00000000C25C: D2890052 00012703
	s_and_b32 s82, s82, 0xffffff                               // 00000000C264: 8652FF52 00FFFFFF
	s_cmp_lt_u32 s82, s66                                      // 00000000C26C: BF0A4252
	s_cselect_b32 s21, s36, s60                                // 00000000C270: 85153C24
	s_mov_b64 exec, s[20:21]                                   // 00000000C274: BEFE0114
	global_atomic_add_f32 v6, v97, s[8:9]                      // 00000000C278: DD348000 00086106
	s_mov_b64 exec, s[36:37]                                   // 00000000C280: BEFE0124
	v_mov_b32_e32 v6, v72                                      // 00000000C284: 7E0C0348
	s_mov_b64 s[60:61], 0                                      // 00000000C288: BEBC0180
	v_readlane_b32 s82, v3, 20                                 // 00000000C28C: D2890052 00012903
	s_and_b32 s82, s82, 0xffffff                               // 00000000C294: 8652FF52 00FFFFFF
	s_cmp_lt_u32 s82, s66                                      // 00000000C29C: BF0A4252
	s_cselect_b32 s20, s36, s60                                // 00000000C2A0: 85143C24
	v_readlane_b32 s82, v3, 21                                 // 00000000C2A4: D2890052 00012B03
	s_and_b32 s82, s82, 0xffffff                               // 00000000C2AC: 8652FF52 00FFFFFF
	s_cmp_lt_u32 s82, s66                                      // 00000000C2B4: BF0A4252
	s_cselect_b32 s21, s36, s60                                // 00000000C2B8: 85153C24
	s_mov_b64 exec, s[20:21]                                   // 00000000C2BC: BEFE0114
	global_atomic_add_f32 v6, v100, s[8:9]                     // 00000000C2C0: DD348000 00086406
	s_mov_b64 exec, s[36:37]                                   // 00000000C2C8: BEFE0124
	v_mov_b32_e32 v6, v73                                      // 00000000C2CC: 7E0C0349
	s_mov_b64 s[60:61], 0                                      // 00000000C2D0: BEBC0180
	v_readlane_b32 s82, v3, 22                                 // 00000000C2D4: D2890052 00012D03
	s_and_b32 s82, s82, 0xffffff                               // 00000000C2DC: 8652FF52 00FFFFFF
	s_cmp_lt_u32 s82, s66                                      // 00000000C2E4: BF0A4252
	s_cselect_b32 s20, s36, s60                                // 00000000C2E8: 85143C24
	v_readlane_b32 s82, v3, 23                                 // 00000000C2EC: D2890052 00012F03
	s_and_b32 s82, s82, 0xffffff                               // 00000000C2F4: 8652FF52 00FFFFFF
	s_cmp_lt_u32 s82, s66                                      // 00000000C2FC: BF0A4252
	s_cselect_b32 s21, s36, s60                                // 00000000C300: 85153C24
	s_mov_b64 exec, s[20:21]                                   // 00000000C304: BEFE0114
	global_atomic_add_f32 v6, v101, s[8:9]                     // 00000000C308: DD348000 00086506
	s_mov_b64 exec, s[36:37]                                   // 00000000C310: BEFE0124
	v_mov_b32_e32 v6, v74                                      // 00000000C314: 7E0C034A
	s_mov_b64 s[60:61], 0                                      // 00000000C318: BEBC0180
	v_readlane_b32 s82, v3, 24                                 // 00000000C31C: D2890052 00013103
	s_and_b32 s82, s82, 0xffffff                               // 00000000C324: 8652FF52 00FFFFFF
	s_cmp_lt_u32 s82, s66                                      // 00000000C32C: BF0A4252
	s_cselect_b32 s20, s36, s60                                // 00000000C330: 85143C24
	v_readlane_b32 s82, v3, 25                                 // 00000000C334: D2890052 00013303
	s_and_b32 s82, s82, 0xffffff                               // 00000000C33C: 8652FF52 00FFFFFF
	s_cmp_lt_u32 s82, s66                                      // 00000000C344: BF0A4252
	s_cselect_b32 s21, s36, s60                                // 00000000C348: 85153C24
	s_mov_b64 exec, s[20:21]                                   // 00000000C34C: BEFE0114
	global_atomic_add_f32 v6, v104, s[8:9]                     // 00000000C350: DD348000 00086806
	s_mov_b64 exec, s[36:37]                                   // 00000000C358: BEFE0124
	v_mov_b32_e32 v6, v75                                      // 00000000C35C: 7E0C034B
	s_mov_b64 s[60:61], 0                                      // 00000000C360: BEBC0180
	v_readlane_b32 s82, v3, 26                                 // 00000000C364: D2890052 00013503
	s_and_b32 s82, s82, 0xffffff                               // 00000000C36C: 8652FF52 00FFFFFF
	s_cmp_lt_u32 s82, s66                                      // 00000000C374: BF0A4252
	s_cselect_b32 s20, s36, s60                                // 00000000C378: 85143C24
	v_readlane_b32 s82, v3, 27                                 // 00000000C37C: D2890052 00013703
	s_and_b32 s82, s82, 0xffffff                               // 00000000C384: 8652FF52 00FFFFFF
	s_cmp_lt_u32 s82, s66                                      // 00000000C38C: BF0A4252
	s_cselect_b32 s21, s36, s60                                // 00000000C390: 85153C24
	s_mov_b64 exec, s[20:21]                                   // 00000000C394: BEFE0114
	global_atomic_add_f32 v6, v105, s[8:9]                     // 00000000C398: DD348000 00086906
	s_mov_b64 exec, s[36:37]                                   // 00000000C3A0: BEFE0124
	v_mov_b32_e32 v6, v76                                      // 00000000C3A4: 7E0C034C
	s_mov_b64 s[60:61], 0                                      // 00000000C3A8: BEBC0180
	v_readlane_b32 s82, v3, 28                                 // 00000000C3AC: D2890052 00013903
	s_and_b32 s82, s82, 0xffffff                               // 00000000C3B4: 8652FF52 00FFFFFF
	s_cmp_lt_u32 s82, s66                                      // 00000000C3BC: BF0A4252
	s_cselect_b32 s20, s36, s60                                // 00000000C3C0: 85143C24
	v_readlane_b32 s82, v3, 29                                 // 00000000C3C4: D2890052 00013B03
	s_and_b32 s82, s82, 0xffffff                               // 00000000C3CC: 8652FF52 00FFFFFF
	s_cmp_lt_u32 s82, s66                                      // 00000000C3D4: BF0A4252
	s_cselect_b32 s21, s36, s60                                // 00000000C3D8: 85153C24
	s_mov_b64 exec, s[20:21]                                   // 00000000C3DC: BEFE0114
	global_atomic_add_f32 v6, v108, s[8:9]                     // 00000000C3E0: DD348000 00086C06
	s_mov_b64 exec, s[36:37]                                   // 00000000C3E8: BEFE0124
	v_mov_b32_e32 v6, v77                                      // 00000000C3EC: 7E0C034D
	s_mov_b64 s[60:61], 0                                      // 00000000C3F0: BEBC0180
	v_readlane_b32 s82, v3, 30                                 // 00000000C3F4: D2890052 00013D03
	s_and_b32 s82, s82, 0xffffff                               // 00000000C3FC: 8652FF52 00FFFFFF
	s_cmp_lt_u32 s82, s66                                      // 00000000C404: BF0A4252
	s_cselect_b32 s20, s36, s60                                // 00000000C408: 85143C24
	v_readlane_b32 s82, v3, 31                                 // 00000000C40C: D2890052 00013F03
	s_and_b32 s82, s82, 0xffffff                               // 00000000C414: 8652FF52 00FFFFFF
	s_cmp_lt_u32 s82, s66                                      // 00000000C41C: BF0A4252
	s_cselect_b32 s21, s36, s60                                // 00000000C420: 85153C24
	s_mov_b64 exec, s[20:21]                                   // 00000000C424: BEFE0114
	global_atomic_add_f32 v6, v109, s[8:9]                     // 00000000C428: DD348000 00086D06
	s_mov_b64 exec, s[36:37]                                   // 00000000C430: BEFE0124
	ds_write_b64 v20, v[82:83]                                 // 00000000C434: D89A0000 00005214
	ds_write_b64 v20, v[86:87] offset:2176                     // 00000000C43C: D89A0880 00005614
	ds_write_b64 v20, v[90:91] offset:4352                     // 00000000C444: D89A1100 00005A14
	ds_write_b64 v20, v[94:95] offset:6528                     // 00000000C44C: D89A1980 00005E14
	ds_write_b64 v20, v[98:99] offset:8704                     // 00000000C454: D89A2200 00006214
	ds_write_b64 v20, v[102:103] offset:10880                  // 00000000C45C: D89A2A80 00006614
	ds_write_b64 v20, v[106:107] offset:13056                  // 00000000C464: D89A3300 00006A14
	ds_write_b64 v20, v[110:111] offset:15232                  // 00000000C46C: D89A3B80 00006E14
	s_waitcnt lgkmcnt(0)                                       // 00000000C474: BF8CC07F
	s_barrier                                                  // 00000000C478: BF8A0000
	ds_read_b32 v82, v21                                       // 00000000C47C: D86C0000 52000015
	ds_read_b32 v83, v21 offset:64                             // 00000000C484: D86C0040 53000015
	ds_read_b32 v86, v21 offset:2176                           // 00000000C48C: D86C0880 56000015
	ds_read_b32 v87, v21 offset:2240                           // 00000000C494: D86C08C0 57000015
	ds_read_b32 v90, v21 offset:4352                           // 00000000C49C: D86C1100 5A000015
	ds_read_b32 v91, v21 offset:4416                           // 00000000C4A4: D86C1140 5B000015
	ds_read_b32 v94, v21 offset:6528                           // 00000000C4AC: D86C1980 5E000015
	ds_read_b32 v95, v21 offset:6592                           // 00000000C4B4: D86C19C0 5F000015
	ds_read_b32 v98, v21 offset:8704                           // 00000000C4BC: D86C2200 62000015
	ds_read_b32 v99, v21 offset:8768                           // 00000000C4C4: D86C2240 63000015
	ds_read_b32 v102, v21 offset:10880                         // 00000000C4CC: D86C2A80 66000015
	ds_read_b32 v103, v21 offset:10944                         // 00000000C4D4: D86C2AC0 67000015
	ds_read_b32 v106, v21 offset:13056                         // 00000000C4DC: D86C3300 6A000015
	ds_read_b32 v107, v21 offset:13120                         // 00000000C4E4: D86C3340 6B000015
	ds_read_b32 v110, v21 offset:15232                         // 00000000C4EC: D86C3B80 6E000015
	ds_read_b32 v111, v21 offset:15296                         // 00000000C4F4: D86C3BC0 6F000015
	s_waitcnt lgkmcnt(0)                                       // 00000000C4FC: BF8CC07F
	v_mov_b32_e32 v7, 0                                        // 00000000C500: 7E0E0280
	s_mov_b64 exec, s[36:37]                                   // 00000000C504: BEFE0124
	v_mov_b32_e32 v6, v62                                      // 00000000C508: 7E0C033E
	s_mov_b64 s[60:61], 0                                      // 00000000C50C: BEBC0180
	v_readlane_b32 s82, v3, 0                                  // 00000000C510: D2890052 00010103
	s_and_b32 s82, s82, 0xffffff                               // 00000000C518: 8652FF52 00FFFFFF
	s_cmp_lt_u32 s82, s66                                      // 00000000C520: BF0A4252
	s_cselect_b32 s20, s36, s60                                // 00000000C524: 85143C24
	v_readlane_b32 s82, v3, 1                                  // 00000000C528: D2890052 00010303
	s_and_b32 s82, s82, 0xffffff                               // 00000000C530: 8652FF52 00FFFFFF
	s_cmp_lt_u32 s82, s66                                      // 00000000C538: BF0A4252
	s_cselect_b32 s21, s36, s60                                // 00000000C53C: 85153C24
	s_mov_b64 exec, s[20:21]                                   // 00000000C540: BEFE0114
	global_atomic_add_f32 v6, v82, s[8:9] offset:8             // 00000000C544: DD348008 00085206
	s_mov_b64 exec, s[36:37]                                   // 00000000C54C: BEFE0124
	v_mov_b32_e32 v6, v63                                      // 00000000C550: 7E0C033F
	s_mov_b64 s[60:61], 0                                      // 00000000C554: BEBC0180
	v_readlane_b32 s82, v3, 2                                  // 00000000C558: D2890052 00010503
	s_and_b32 s82, s82, 0xffffff                               // 00000000C560: 8652FF52 00FFFFFF
	s_cmp_lt_u32 s82, s66                                      // 00000000C568: BF0A4252
	s_cselect_b32 s20, s36, s60                                // 00000000C56C: 85143C24
	v_readlane_b32 s82, v3, 3                                  // 00000000C570: D2890052 00010703
	s_and_b32 s82, s82, 0xffffff                               // 00000000C578: 8652FF52 00FFFFFF
	s_cmp_lt_u32 s82, s66                                      // 00000000C580: BF0A4252
	s_cselect_b32 s21, s36, s60                                // 00000000C584: 85153C24
	s_mov_b64 exec, s[20:21]                                   // 00000000C588: BEFE0114
	global_atomic_add_f32 v6, v83, s[8:9] offset:8             // 00000000C58C: DD348008 00085306
	s_mov_b64 exec, s[36:37]                                   // 00000000C594: BEFE0124
	v_mov_b32_e32 v6, v64                                      // 00000000C598: 7E0C0340
	s_mov_b64 s[60:61], 0                                      // 00000000C59C: BEBC0180
	v_readlane_b32 s82, v3, 4                                  // 00000000C5A0: D2890052 00010903
	s_and_b32 s82, s82, 0xffffff                               // 00000000C5A8: 8652FF52 00FFFFFF
	s_cmp_lt_u32 s82, s66                                      // 00000000C5B0: BF0A4252
	s_cselect_b32 s20, s36, s60                                // 00000000C5B4: 85143C24
	v_readlane_b32 s82, v3, 5                                  // 00000000C5B8: D2890052 00010B03
	s_and_b32 s82, s82, 0xffffff                               // 00000000C5C0: 8652FF52 00FFFFFF
	s_cmp_lt_u32 s82, s66                                      // 00000000C5C8: BF0A4252
	s_cselect_b32 s21, s36, s60                                // 00000000C5CC: 85153C24
	s_mov_b64 exec, s[20:21]                                   // 00000000C5D0: BEFE0114
	global_atomic_add_f32 v6, v86, s[8:9] offset:8             // 00000000C5D4: DD348008 00085606
	s_mov_b64 exec, s[36:37]                                   // 00000000C5DC: BEFE0124
	v_mov_b32_e32 v6, v65                                      // 00000000C5E0: 7E0C0341
	s_mov_b64 s[60:61], 0                                      // 00000000C5E4: BEBC0180
	v_readlane_b32 s82, v3, 6                                  // 00000000C5E8: D2890052 00010D03
	s_and_b32 s82, s82, 0xffffff                               // 00000000C5F0: 8652FF52 00FFFFFF
	s_cmp_lt_u32 s82, s66                                      // 00000000C5F8: BF0A4252
	s_cselect_b32 s20, s36, s60                                // 00000000C5FC: 85143C24
	v_readlane_b32 s82, v3, 7                                  // 00000000C600: D2890052 00010F03
	s_and_b32 s82, s82, 0xffffff                               // 00000000C608: 8652FF52 00FFFFFF
	s_cmp_lt_u32 s82, s66                                      // 00000000C610: BF0A4252
	s_cselect_b32 s21, s36, s60                                // 00000000C614: 85153C24
	s_mov_b64 exec, s[20:21]                                   // 00000000C618: BEFE0114
	global_atomic_add_f32 v6, v87, s[8:9] offset:8             // 00000000C61C: DD348008 00085706
	s_mov_b64 exec, s[36:37]                                   // 00000000C624: BEFE0124
	v_mov_b32_e32 v6, v66                                      // 00000000C628: 7E0C0342
	s_mov_b64 s[60:61], 0                                      // 00000000C62C: BEBC0180
	v_readlane_b32 s82, v3, 8                                  // 00000000C630: D2890052 00011103
	s_and_b32 s82, s82, 0xffffff                               // 00000000C638: 8652FF52 00FFFFFF
	s_cmp_lt_u32 s82, s66                                      // 00000000C640: BF0A4252
	s_cselect_b32 s20, s36, s60                                // 00000000C644: 85143C24
	v_readlane_b32 s82, v3, 9                                  // 00000000C648: D2890052 00011303
	s_and_b32 s82, s82, 0xffffff                               // 00000000C650: 8652FF52 00FFFFFF
	s_cmp_lt_u32 s82, s66                                      // 00000000C658: BF0A4252
	s_cselect_b32 s21, s36, s60                                // 00000000C65C: 85153C24
	s_mov_b64 exec, s[20:21]                                   // 00000000C660: BEFE0114
	global_atomic_add_f32 v6, v90, s[8:9] offset:8             // 00000000C664: DD348008 00085A06
	s_mov_b64 exec, s[36:37]                                   // 00000000C66C: BEFE0124
	v_mov_b32_e32 v6, v67                                      // 00000000C670: 7E0C0343
	s_mov_b64 s[60:61], 0                                      // 00000000C674: BEBC0180
	v_readlane_b32 s82, v3, 10                                 // 00000000C678: D2890052 00011503
	s_and_b32 s82, s82, 0xffffff                               // 00000000C680: 8652FF52 00FFFFFF
	s_cmp_lt_u32 s82, s66                                      // 00000000C688: BF0A4252
	s_cselect_b32 s20, s36, s60                                // 00000000C68C: 85143C24
	v_readlane_b32 s82, v3, 11                                 // 00000000C690: D2890052 00011703
	s_and_b32 s82, s82, 0xffffff                               // 00000000C698: 8652FF52 00FFFFFF
	s_cmp_lt_u32 s82, s66                                      // 00000000C6A0: BF0A4252
	s_cselect_b32 s21, s36, s60                                // 00000000C6A4: 85153C24
	s_mov_b64 exec, s[20:21]                                   // 00000000C6A8: BEFE0114
	global_atomic_add_f32 v6, v91, s[8:9] offset:8             // 00000000C6AC: DD348008 00085B06
	s_mov_b64 exec, s[36:37]                                   // 00000000C6B4: BEFE0124
	v_mov_b32_e32 v6, v68                                      // 00000000C6B8: 7E0C0344
	s_mov_b64 s[60:61], 0                                      // 00000000C6BC: BEBC0180
	v_readlane_b32 s82, v3, 12                                 // 00000000C6C0: D2890052 00011903
	s_and_b32 s82, s82, 0xffffff                               // 00000000C6C8: 8652FF52 00FFFFFF
	s_cmp_lt_u32 s82, s66                                      // 00000000C6D0: BF0A4252
	s_cselect_b32 s20, s36, s60                                // 00000000C6D4: 85143C24
	v_readlane_b32 s82, v3, 13                                 // 00000000C6D8: D2890052 00011B03
	s_and_b32 s82, s82, 0xffffff                               // 00000000C6E0: 8652FF52 00FFFFFF
	s_cmp_lt_u32 s82, s66                                      // 00000000C6E8: BF0A4252
	s_cselect_b32 s21, s36, s60                                // 00000000C6EC: 85153C24
	s_mov_b64 exec, s[20:21]                                   // 00000000C6F0: BEFE0114
	global_atomic_add_f32 v6, v94, s[8:9] offset:8             // 00000000C6F4: DD348008 00085E06
	s_mov_b64 exec, s[36:37]                                   // 00000000C6FC: BEFE0124
	v_mov_b32_e32 v6, v69                                      // 00000000C700: 7E0C0345
	s_mov_b64 s[60:61], 0                                      // 00000000C704: BEBC0180
	v_readlane_b32 s82, v3, 14                                 // 00000000C708: D2890052 00011D03
	s_and_b32 s82, s82, 0xffffff                               // 00000000C710: 8652FF52 00FFFFFF
	s_cmp_lt_u32 s82, s66                                      // 00000000C718: BF0A4252
	s_cselect_b32 s20, s36, s60                                // 00000000C71C: 85143C24
	v_readlane_b32 s82, v3, 15                                 // 00000000C720: D2890052 00011F03
	s_and_b32 s82, s82, 0xffffff                               // 00000000C728: 8652FF52 00FFFFFF
	s_cmp_lt_u32 s82, s66                                      // 00000000C730: BF0A4252
	s_cselect_b32 s21, s36, s60                                // 00000000C734: 85153C24
	s_mov_b64 exec, s[20:21]                                   // 00000000C738: BEFE0114
	global_atomic_add_f32 v6, v95, s[8:9] offset:8             // 00000000C73C: DD348008 00085F06
	s_mov_b64 exec, s[36:37]                                   // 00000000C744: BEFE0124
	v_mov_b32_e32 v6, v70                                      // 00000000C748: 7E0C0346
	s_mov_b64 s[60:61], 0                                      // 00000000C74C: BEBC0180
	v_readlane_b32 s82, v3, 16                                 // 00000000C750: D2890052 00012103
	s_and_b32 s82, s82, 0xffffff                               // 00000000C758: 8652FF52 00FFFFFF
	s_cmp_lt_u32 s82, s66                                      // 00000000C760: BF0A4252
	s_cselect_b32 s20, s36, s60                                // 00000000C764: 85143C24
	v_readlane_b32 s82, v3, 17                                 // 00000000C768: D2890052 00012303
	s_and_b32 s82, s82, 0xffffff                               // 00000000C770: 8652FF52 00FFFFFF
	s_cmp_lt_u32 s82, s66                                      // 00000000C778: BF0A4252
	s_cselect_b32 s21, s36, s60                                // 00000000C77C: 85153C24
	s_mov_b64 exec, s[20:21]                                   // 00000000C780: BEFE0114
	global_atomic_add_f32 v6, v98, s[8:9] offset:8             // 00000000C784: DD348008 00086206
	s_mov_b64 exec, s[36:37]                                   // 00000000C78C: BEFE0124
	v_mov_b32_e32 v6, v71                                      // 00000000C790: 7E0C0347
	s_mov_b64 s[60:61], 0                                      // 00000000C794: BEBC0180
	v_readlane_b32 s82, v3, 18                                 // 00000000C798: D2890052 00012503
	s_and_b32 s82, s82, 0xffffff                               // 00000000C7A0: 8652FF52 00FFFFFF
	s_cmp_lt_u32 s82, s66                                      // 00000000C7A8: BF0A4252
	s_cselect_b32 s20, s36, s60                                // 00000000C7AC: 85143C24
	v_readlane_b32 s82, v3, 19                                 // 00000000C7B0: D2890052 00012703
	s_and_b32 s82, s82, 0xffffff                               // 00000000C7B8: 8652FF52 00FFFFFF
	s_cmp_lt_u32 s82, s66                                      // 00000000C7C0: BF0A4252
	s_cselect_b32 s21, s36, s60                                // 00000000C7C4: 85153C24
	s_mov_b64 exec, s[20:21]                                   // 00000000C7C8: BEFE0114
	global_atomic_add_f32 v6, v99, s[8:9] offset:8             // 00000000C7CC: DD348008 00086306
	s_mov_b64 exec, s[36:37]                                   // 00000000C7D4: BEFE0124
	v_mov_b32_e32 v6, v72                                      // 00000000C7D8: 7E0C0348
	s_mov_b64 s[60:61], 0                                      // 00000000C7DC: BEBC0180
	v_readlane_b32 s82, v3, 20                                 // 00000000C7E0: D2890052 00012903
	s_and_b32 s82, s82, 0xffffff                               // 00000000C7E8: 8652FF52 00FFFFFF
	s_cmp_lt_u32 s82, s66                                      // 00000000C7F0: BF0A4252
	s_cselect_b32 s20, s36, s60                                // 00000000C7F4: 85143C24
	v_readlane_b32 s82, v3, 21                                 // 00000000C7F8: D2890052 00012B03
	s_and_b32 s82, s82, 0xffffff                               // 00000000C800: 8652FF52 00FFFFFF
	s_cmp_lt_u32 s82, s66                                      // 00000000C808: BF0A4252
	s_cselect_b32 s21, s36, s60                                // 00000000C80C: 85153C24
	s_mov_b64 exec, s[20:21]                                   // 00000000C810: BEFE0114
	global_atomic_add_f32 v6, v102, s[8:9] offset:8            // 00000000C814: DD348008 00086606
	s_mov_b64 exec, s[36:37]                                   // 00000000C81C: BEFE0124
	v_mov_b32_e32 v6, v73                                      // 00000000C820: 7E0C0349
	s_mov_b64 s[60:61], 0                                      // 00000000C824: BEBC0180
	v_readlane_b32 s82, v3, 22                                 // 00000000C828: D2890052 00012D03
	s_and_b32 s82, s82, 0xffffff                               // 00000000C830: 8652FF52 00FFFFFF
	s_cmp_lt_u32 s82, s66                                      // 00000000C838: BF0A4252
	s_cselect_b32 s20, s36, s60                                // 00000000C83C: 85143C24
	v_readlane_b32 s82, v3, 23                                 // 00000000C840: D2890052 00012F03
	s_and_b32 s82, s82, 0xffffff                               // 00000000C848: 8652FF52 00FFFFFF
	s_cmp_lt_u32 s82, s66                                      // 00000000C850: BF0A4252
	s_cselect_b32 s21, s36, s60                                // 00000000C854: 85153C24
	s_mov_b64 exec, s[20:21]                                   // 00000000C858: BEFE0114
	global_atomic_add_f32 v6, v103, s[8:9] offset:8            // 00000000C85C: DD348008 00086706
	s_mov_b64 exec, s[36:37]                                   // 00000000C864: BEFE0124
	v_mov_b32_e32 v6, v74                                      // 00000000C868: 7E0C034A
	s_mov_b64 s[60:61], 0                                      // 00000000C86C: BEBC0180
	v_readlane_b32 s82, v3, 24                                 // 00000000C870: D2890052 00013103
	s_and_b32 s82, s82, 0xffffff                               // 00000000C878: 8652FF52 00FFFFFF
	s_cmp_lt_u32 s82, s66                                      // 00000000C880: BF0A4252
	s_cselect_b32 s20, s36, s60                                // 00000000C884: 85143C24
	v_readlane_b32 s82, v3, 25                                 // 00000000C888: D2890052 00013303
	s_and_b32 s82, s82, 0xffffff                               // 00000000C890: 8652FF52 00FFFFFF
	s_cmp_lt_u32 s82, s66                                      // 00000000C898: BF0A4252
	s_cselect_b32 s21, s36, s60                                // 00000000C89C: 85153C24
	s_mov_b64 exec, s[20:21]                                   // 00000000C8A0: BEFE0114
	global_atomic_add_f32 v6, v106, s[8:9] offset:8            // 00000000C8A4: DD348008 00086A06
	s_mov_b64 exec, s[36:37]                                   // 00000000C8AC: BEFE0124
	v_mov_b32_e32 v6, v75                                      // 00000000C8B0: 7E0C034B
	s_mov_b64 s[60:61], 0                                      // 00000000C8B4: BEBC0180
	v_readlane_b32 s82, v3, 26                                 // 00000000C8B8: D2890052 00013503
	s_and_b32 s82, s82, 0xffffff                               // 00000000C8C0: 8652FF52 00FFFFFF
	s_cmp_lt_u32 s82, s66                                      // 00000000C8C8: BF0A4252
	s_cselect_b32 s20, s36, s60                                // 00000000C8CC: 85143C24
	v_readlane_b32 s82, v3, 27                                 // 00000000C8D0: D2890052 00013703
	s_and_b32 s82, s82, 0xffffff                               // 00000000C8D8: 8652FF52 00FFFFFF
	s_cmp_lt_u32 s82, s66                                      // 00000000C8E0: BF0A4252
	s_cselect_b32 s21, s36, s60                                // 00000000C8E4: 85153C24
	s_mov_b64 exec, s[20:21]                                   // 00000000C8E8: BEFE0114
	global_atomic_add_f32 v6, v107, s[8:9] offset:8            // 00000000C8EC: DD348008 00086B06
	s_mov_b64 exec, s[36:37]                                   // 00000000C8F4: BEFE0124
	v_mov_b32_e32 v6, v76                                      // 00000000C8F8: 7E0C034C
	s_mov_b64 s[60:61], 0                                      // 00000000C8FC: BEBC0180
	v_readlane_b32 s82, v3, 28                                 // 00000000C900: D2890052 00013903
	s_and_b32 s82, s82, 0xffffff                               // 00000000C908: 8652FF52 00FFFFFF
	s_cmp_lt_u32 s82, s66                                      // 00000000C910: BF0A4252
	s_cselect_b32 s20, s36, s60                                // 00000000C914: 85143C24
	v_readlane_b32 s82, v3, 29                                 // 00000000C918: D2890052 00013B03
	s_and_b32 s82, s82, 0xffffff                               // 00000000C920: 8652FF52 00FFFFFF
	s_cmp_lt_u32 s82, s66                                      // 00000000C928: BF0A4252
	s_cselect_b32 s21, s36, s60                                // 00000000C92C: 85153C24
	s_mov_b64 exec, s[20:21]                                   // 00000000C930: BEFE0114
	global_atomic_add_f32 v6, v110, s[8:9] offset:8            // 00000000C934: DD348008 00086E06
	s_mov_b64 exec, s[36:37]                                   // 00000000C93C: BEFE0124
	v_mov_b32_e32 v6, v77                                      // 00000000C940: 7E0C034D
	s_mov_b64 s[60:61], 0                                      // 00000000C944: BEBC0180
	v_readlane_b32 s82, v3, 30                                 // 00000000C948: D2890052 00013D03
	s_and_b32 s82, s82, 0xffffff                               // 00000000C950: 8652FF52 00FFFFFF
	s_cmp_lt_u32 s82, s66                                      // 00000000C958: BF0A4252
	s_cselect_b32 s20, s36, s60                                // 00000000C95C: 85143C24
	v_readlane_b32 s82, v3, 31                                 // 00000000C960: D2890052 00013F03
	s_and_b32 s82, s82, 0xffffff                               // 00000000C968: 8652FF52 00FFFFFF
	s_cmp_lt_u32 s82, s66                                      // 00000000C970: BF0A4252
	s_cselect_b32 s21, s36, s60                                // 00000000C974: 85153C24
	s_mov_b64 exec, s[20:21]                                   // 00000000C978: BEFE0114
	global_atomic_add_f32 v6, v111, s[8:9] offset:8            // 00000000C97C: DD348008 00086F06
	s_mov_b64 exec, s[36:37]                                   // 00000000C984: BEFE0124
	ds_write_b64 v20, v[112:113]                               // 00000000C988: D89A0000 00007014
	ds_write_b64 v20, v[116:117] offset:2176                   // 00000000C990: D89A0880 00007414
	ds_write_b64 v20, v[120:121] offset:4352                   // 00000000C998: D89A1100 00007814
	ds_write_b64 v20, v[124:125] offset:6528                   // 00000000C9A0: D89A1980 00007C14
	ds_write_b64 v20, v[128:129] offset:8704                   // 00000000C9A8: D89A2200 00008014
	ds_write_b64 v20, v[132:133] offset:10880                  // 00000000C9B0: D89A2A80 00008414
	ds_write_b64 v20, v[136:137] offset:13056                  // 00000000C9B8: D89A3300 00008814
	ds_write_b64 v20, v[140:141] offset:15232                  // 00000000C9C0: D89A3B80 00008C14
	s_waitcnt lgkmcnt(0)                                       // 00000000C9C8: BF8CC07F
	s_barrier                                                  // 00000000C9CC: BF8A0000
	ds_read_b32 v112, v21                                      // 00000000C9D0: D86C0000 70000015
	ds_read_b32 v113, v21 offset:64                            // 00000000C9D8: D86C0040 71000015
	ds_read_b32 v116, v21 offset:2176                          // 00000000C9E0: D86C0880 74000015
	ds_read_b32 v117, v21 offset:2240                          // 00000000C9E8: D86C08C0 75000015
	ds_read_b32 v120, v21 offset:4352                          // 00000000C9F0: D86C1100 78000015
	ds_read_b32 v121, v21 offset:4416                          // 00000000C9F8: D86C1140 79000015
	ds_read_b32 v124, v21 offset:6528                          // 00000000CA00: D86C1980 7C000015
	ds_read_b32 v125, v21 offset:6592                          // 00000000CA08: D86C19C0 7D000015
	ds_read_b32 v128, v21 offset:8704                          // 00000000CA10: D86C2200 80000015
	ds_read_b32 v129, v21 offset:8768                          // 00000000CA18: D86C2240 81000015
	ds_read_b32 v132, v21 offset:10880                         // 00000000CA20: D86C2A80 84000015
	ds_read_b32 v133, v21 offset:10944                         // 00000000CA28: D86C2AC0 85000015
	ds_read_b32 v136, v21 offset:13056                         // 00000000CA30: D86C3300 88000015
	ds_read_b32 v137, v21 offset:13120                         // 00000000CA38: D86C3340 89000015
	ds_read_b32 v140, v21 offset:15232                         // 00000000CA40: D86C3B80 8C000015
	ds_read_b32 v141, v21 offset:15296                         // 00000000CA48: D86C3BC0 8D000015
	s_mul_i32 s60, s65, 4                                      // 00000000CA50: 923C8441
	s_add_u32 s8, s60, s8                                      // 00000000CA54: 8008083C
	s_addc_u32 s9, 0, s9                                       // 00000000CA58: 82090980
	s_waitcnt lgkmcnt(0)                                       // 00000000CA5C: BF8CC07F
	v_mov_b32_e32 v7, 0                                        // 00000000CA60: 7E0E0280
	s_mov_b64 exec, s[36:37]                                   // 00000000CA64: BEFE0124
	v_mov_b32_e32 v6, v62                                      // 00000000CA68: 7E0C033E
	s_mov_b64 s[60:61], 0                                      // 00000000CA6C: BEBC0180
	v_readlane_b32 s82, v3, 0                                  // 00000000CA70: D2890052 00010103
	s_and_b32 s82, s82, 0xffffff                               // 00000000CA78: 8652FF52 00FFFFFF
	s_cmp_lt_u32 s82, s66                                      // 00000000CA80: BF0A4252
	s_cselect_b32 s20, s36, s60                                // 00000000CA84: 85143C24
	v_readlane_b32 s82, v3, 1                                  // 00000000CA88: D2890052 00010303
	s_and_b32 s82, s82, 0xffffff                               // 00000000CA90: 8652FF52 00FFFFFF
	s_cmp_lt_u32 s82, s66                                      // 00000000CA98: BF0A4252
	s_cselect_b32 s21, s36, s60                                // 00000000CA9C: 85153C24
	s_mov_b64 exec, s[20:21]                                   // 00000000CAA0: BEFE0114
	global_atomic_add_f32 v6, v112, s[8:9]                     // 00000000CAA4: DD348000 00087006
	s_mov_b64 exec, s[36:37]                                   // 00000000CAAC: BEFE0124
	v_mov_b32_e32 v6, v63                                      // 00000000CAB0: 7E0C033F
	s_mov_b64 s[60:61], 0                                      // 00000000CAB4: BEBC0180
	v_readlane_b32 s82, v3, 2                                  // 00000000CAB8: D2890052 00010503
	s_and_b32 s82, s82, 0xffffff                               // 00000000CAC0: 8652FF52 00FFFFFF
	s_cmp_lt_u32 s82, s66                                      // 00000000CAC8: BF0A4252
	s_cselect_b32 s20, s36, s60                                // 00000000CACC: 85143C24
	v_readlane_b32 s82, v3, 3                                  // 00000000CAD0: D2890052 00010703
	s_and_b32 s82, s82, 0xffffff                               // 00000000CAD8: 8652FF52 00FFFFFF
	s_cmp_lt_u32 s82, s66                                      // 00000000CAE0: BF0A4252
	s_cselect_b32 s21, s36, s60                                // 00000000CAE4: 85153C24
	s_mov_b64 exec, s[20:21]                                   // 00000000CAE8: BEFE0114
	global_atomic_add_f32 v6, v113, s[8:9]                     // 00000000CAEC: DD348000 00087106
	s_mov_b64 exec, s[36:37]                                   // 00000000CAF4: BEFE0124
	v_mov_b32_e32 v6, v64                                      // 00000000CAF8: 7E0C0340
	s_mov_b64 s[60:61], 0                                      // 00000000CAFC: BEBC0180
	v_readlane_b32 s82, v3, 4                                  // 00000000CB00: D2890052 00010903
	s_and_b32 s82, s82, 0xffffff                               // 00000000CB08: 8652FF52 00FFFFFF
	s_cmp_lt_u32 s82, s66                                      // 00000000CB10: BF0A4252
	s_cselect_b32 s20, s36, s60                                // 00000000CB14: 85143C24
	v_readlane_b32 s82, v3, 5                                  // 00000000CB18: D2890052 00010B03
	s_and_b32 s82, s82, 0xffffff                               // 00000000CB20: 8652FF52 00FFFFFF
	s_cmp_lt_u32 s82, s66                                      // 00000000CB28: BF0A4252
	s_cselect_b32 s21, s36, s60                                // 00000000CB2C: 85153C24
	s_mov_b64 exec, s[20:21]                                   // 00000000CB30: BEFE0114
	global_atomic_add_f32 v6, v116, s[8:9]                     // 00000000CB34: DD348000 00087406
	s_mov_b64 exec, s[36:37]                                   // 00000000CB3C: BEFE0124
	v_mov_b32_e32 v6, v65                                      // 00000000CB40: 7E0C0341
	s_mov_b64 s[60:61], 0                                      // 00000000CB44: BEBC0180
	v_readlane_b32 s82, v3, 6                                  // 00000000CB48: D2890052 00010D03
	s_and_b32 s82, s82, 0xffffff                               // 00000000CB50: 8652FF52 00FFFFFF
	s_cmp_lt_u32 s82, s66                                      // 00000000CB58: BF0A4252
	s_cselect_b32 s20, s36, s60                                // 00000000CB5C: 85143C24
	v_readlane_b32 s82, v3, 7                                  // 00000000CB60: D2890052 00010F03
	s_and_b32 s82, s82, 0xffffff                               // 00000000CB68: 8652FF52 00FFFFFF
	s_cmp_lt_u32 s82, s66                                      // 00000000CB70: BF0A4252
	s_cselect_b32 s21, s36, s60                                // 00000000CB74: 85153C24
	s_mov_b64 exec, s[20:21]                                   // 00000000CB78: BEFE0114
	global_atomic_add_f32 v6, v117, s[8:9]                     // 00000000CB7C: DD348000 00087506
	s_mov_b64 exec, s[36:37]                                   // 00000000CB84: BEFE0124
	v_mov_b32_e32 v6, v66                                      // 00000000CB88: 7E0C0342
	s_mov_b64 s[60:61], 0                                      // 00000000CB8C: BEBC0180
	v_readlane_b32 s82, v3, 8                                  // 00000000CB90: D2890052 00011103
	s_and_b32 s82, s82, 0xffffff                               // 00000000CB98: 8652FF52 00FFFFFF
	s_cmp_lt_u32 s82, s66                                      // 00000000CBA0: BF0A4252
	s_cselect_b32 s20, s36, s60                                // 00000000CBA4: 85143C24
	v_readlane_b32 s82, v3, 9                                  // 00000000CBA8: D2890052 00011303
	s_and_b32 s82, s82, 0xffffff                               // 00000000CBB0: 8652FF52 00FFFFFF
	s_cmp_lt_u32 s82, s66                                      // 00000000CBB8: BF0A4252
	s_cselect_b32 s21, s36, s60                                // 00000000CBBC: 85153C24
	s_mov_b64 exec, s[20:21]                                   // 00000000CBC0: BEFE0114
	global_atomic_add_f32 v6, v120, s[8:9]                     // 00000000CBC4: DD348000 00087806
	s_mov_b64 exec, s[36:37]                                   // 00000000CBCC: BEFE0124
	v_mov_b32_e32 v6, v67                                      // 00000000CBD0: 7E0C0343
	s_mov_b64 s[60:61], 0                                      // 00000000CBD4: BEBC0180
	v_readlane_b32 s82, v3, 10                                 // 00000000CBD8: D2890052 00011503
	s_and_b32 s82, s82, 0xffffff                               // 00000000CBE0: 8652FF52 00FFFFFF
	s_cmp_lt_u32 s82, s66                                      // 00000000CBE8: BF0A4252
	s_cselect_b32 s20, s36, s60                                // 00000000CBEC: 85143C24
	v_readlane_b32 s82, v3, 11                                 // 00000000CBF0: D2890052 00011703
	s_and_b32 s82, s82, 0xffffff                               // 00000000CBF8: 8652FF52 00FFFFFF
	s_cmp_lt_u32 s82, s66                                      // 00000000CC00: BF0A4252
	s_cselect_b32 s21, s36, s60                                // 00000000CC04: 85153C24
	s_mov_b64 exec, s[20:21]                                   // 00000000CC08: BEFE0114
	global_atomic_add_f32 v6, v121, s[8:9]                     // 00000000CC0C: DD348000 00087906
	s_mov_b64 exec, s[36:37]                                   // 00000000CC14: BEFE0124
	v_mov_b32_e32 v6, v68                                      // 00000000CC18: 7E0C0344
	s_mov_b64 s[60:61], 0                                      // 00000000CC1C: BEBC0180
	v_readlane_b32 s82, v3, 12                                 // 00000000CC20: D2890052 00011903
	s_and_b32 s82, s82, 0xffffff                               // 00000000CC28: 8652FF52 00FFFFFF
	s_cmp_lt_u32 s82, s66                                      // 00000000CC30: BF0A4252
	s_cselect_b32 s20, s36, s60                                // 00000000CC34: 85143C24
	v_readlane_b32 s82, v3, 13                                 // 00000000CC38: D2890052 00011B03
	s_and_b32 s82, s82, 0xffffff                               // 00000000CC40: 8652FF52 00FFFFFF
	s_cmp_lt_u32 s82, s66                                      // 00000000CC48: BF0A4252
	s_cselect_b32 s21, s36, s60                                // 00000000CC4C: 85153C24
	s_mov_b64 exec, s[20:21]                                   // 00000000CC50: BEFE0114
	global_atomic_add_f32 v6, v124, s[8:9]                     // 00000000CC54: DD348000 00087C06
	s_mov_b64 exec, s[36:37]                                   // 00000000CC5C: BEFE0124
	v_mov_b32_e32 v6, v69                                      // 00000000CC60: 7E0C0345
	s_mov_b64 s[60:61], 0                                      // 00000000CC64: BEBC0180
	v_readlane_b32 s82, v3, 14                                 // 00000000CC68: D2890052 00011D03
	s_and_b32 s82, s82, 0xffffff                               // 00000000CC70: 8652FF52 00FFFFFF
	s_cmp_lt_u32 s82, s66                                      // 00000000CC78: BF0A4252
	s_cselect_b32 s20, s36, s60                                // 00000000CC7C: 85143C24
	v_readlane_b32 s82, v3, 15                                 // 00000000CC80: D2890052 00011F03
	s_and_b32 s82, s82, 0xffffff                               // 00000000CC88: 8652FF52 00FFFFFF
	s_cmp_lt_u32 s82, s66                                      // 00000000CC90: BF0A4252
	s_cselect_b32 s21, s36, s60                                // 00000000CC94: 85153C24
	s_mov_b64 exec, s[20:21]                                   // 00000000CC98: BEFE0114
	global_atomic_add_f32 v6, v125, s[8:9]                     // 00000000CC9C: DD348000 00087D06
	s_mov_b64 exec, s[36:37]                                   // 00000000CCA4: BEFE0124
	v_mov_b32_e32 v6, v70                                      // 00000000CCA8: 7E0C0346
	s_mov_b64 s[60:61], 0                                      // 00000000CCAC: BEBC0180
	v_readlane_b32 s82, v3, 16                                 // 00000000CCB0: D2890052 00012103
	s_and_b32 s82, s82, 0xffffff                               // 00000000CCB8: 8652FF52 00FFFFFF
	s_cmp_lt_u32 s82, s66                                      // 00000000CCC0: BF0A4252
	s_cselect_b32 s20, s36, s60                                // 00000000CCC4: 85143C24
	v_readlane_b32 s82, v3, 17                                 // 00000000CCC8: D2890052 00012303
	s_and_b32 s82, s82, 0xffffff                               // 00000000CCD0: 8652FF52 00FFFFFF
	s_cmp_lt_u32 s82, s66                                      // 00000000CCD8: BF0A4252
	s_cselect_b32 s21, s36, s60                                // 00000000CCDC: 85153C24
	s_mov_b64 exec, s[20:21]                                   // 00000000CCE0: BEFE0114
	global_atomic_add_f32 v6, v128, s[8:9]                     // 00000000CCE4: DD348000 00088006
	s_mov_b64 exec, s[36:37]                                   // 00000000CCEC: BEFE0124
	v_mov_b32_e32 v6, v71                                      // 00000000CCF0: 7E0C0347
	s_mov_b64 s[60:61], 0                                      // 00000000CCF4: BEBC0180
	v_readlane_b32 s82, v3, 18                                 // 00000000CCF8: D2890052 00012503
	s_and_b32 s82, s82, 0xffffff                               // 00000000CD00: 8652FF52 00FFFFFF
	s_cmp_lt_u32 s82, s66                                      // 00000000CD08: BF0A4252
	s_cselect_b32 s20, s36, s60                                // 00000000CD0C: 85143C24
	v_readlane_b32 s82, v3, 19                                 // 00000000CD10: D2890052 00012703
	s_and_b32 s82, s82, 0xffffff                               // 00000000CD18: 8652FF52 00FFFFFF
	s_cmp_lt_u32 s82, s66                                      // 00000000CD20: BF0A4252
	s_cselect_b32 s21, s36, s60                                // 00000000CD24: 85153C24
	s_mov_b64 exec, s[20:21]                                   // 00000000CD28: BEFE0114
	global_atomic_add_f32 v6, v129, s[8:9]                     // 00000000CD2C: DD348000 00088106
	s_mov_b64 exec, s[36:37]                                   // 00000000CD34: BEFE0124
	v_mov_b32_e32 v6, v72                                      // 00000000CD38: 7E0C0348
	s_mov_b64 s[60:61], 0                                      // 00000000CD3C: BEBC0180
	v_readlane_b32 s82, v3, 20                                 // 00000000CD40: D2890052 00012903
	s_and_b32 s82, s82, 0xffffff                               // 00000000CD48: 8652FF52 00FFFFFF
	s_cmp_lt_u32 s82, s66                                      // 00000000CD50: BF0A4252
	s_cselect_b32 s20, s36, s60                                // 00000000CD54: 85143C24
	v_readlane_b32 s82, v3, 21                                 // 00000000CD58: D2890052 00012B03
	s_and_b32 s82, s82, 0xffffff                               // 00000000CD60: 8652FF52 00FFFFFF
	s_cmp_lt_u32 s82, s66                                      // 00000000CD68: BF0A4252
	s_cselect_b32 s21, s36, s60                                // 00000000CD6C: 85153C24
	s_mov_b64 exec, s[20:21]                                   // 00000000CD70: BEFE0114
	global_atomic_add_f32 v6, v132, s[8:9]                     // 00000000CD74: DD348000 00088406
	s_mov_b64 exec, s[36:37]                                   // 00000000CD7C: BEFE0124
	v_mov_b32_e32 v6, v73                                      // 00000000CD80: 7E0C0349
	s_mov_b64 s[60:61], 0                                      // 00000000CD84: BEBC0180
	v_readlane_b32 s82, v3, 22                                 // 00000000CD88: D2890052 00012D03
	s_and_b32 s82, s82, 0xffffff                               // 00000000CD90: 8652FF52 00FFFFFF
	s_cmp_lt_u32 s82, s66                                      // 00000000CD98: BF0A4252
	s_cselect_b32 s20, s36, s60                                // 00000000CD9C: 85143C24
	v_readlane_b32 s82, v3, 23                                 // 00000000CDA0: D2890052 00012F03
	s_and_b32 s82, s82, 0xffffff                               // 00000000CDA8: 8652FF52 00FFFFFF
	s_cmp_lt_u32 s82, s66                                      // 00000000CDB0: BF0A4252
	s_cselect_b32 s21, s36, s60                                // 00000000CDB4: 85153C24
	s_mov_b64 exec, s[20:21]                                   // 00000000CDB8: BEFE0114
	global_atomic_add_f32 v6, v133, s[8:9]                     // 00000000CDBC: DD348000 00088506
	s_mov_b64 exec, s[36:37]                                   // 00000000CDC4: BEFE0124
	v_mov_b32_e32 v6, v74                                      // 00000000CDC8: 7E0C034A
	s_mov_b64 s[60:61], 0                                      // 00000000CDCC: BEBC0180
	v_readlane_b32 s82, v3, 24                                 // 00000000CDD0: D2890052 00013103
	s_and_b32 s82, s82, 0xffffff                               // 00000000CDD8: 8652FF52 00FFFFFF
	s_cmp_lt_u32 s82, s66                                      // 00000000CDE0: BF0A4252
	s_cselect_b32 s20, s36, s60                                // 00000000CDE4: 85143C24
	v_readlane_b32 s82, v3, 25                                 // 00000000CDE8: D2890052 00013303
	s_and_b32 s82, s82, 0xffffff                               // 00000000CDF0: 8652FF52 00FFFFFF
	s_cmp_lt_u32 s82, s66                                      // 00000000CDF8: BF0A4252
	s_cselect_b32 s21, s36, s60                                // 00000000CDFC: 85153C24
	s_mov_b64 exec, s[20:21]                                   // 00000000CE00: BEFE0114
	global_atomic_add_f32 v6, v136, s[8:9]                     // 00000000CE04: DD348000 00088806
	s_mov_b64 exec, s[36:37]                                   // 00000000CE0C: BEFE0124
	v_mov_b32_e32 v6, v75                                      // 00000000CE10: 7E0C034B
	s_mov_b64 s[60:61], 0                                      // 00000000CE14: BEBC0180
	v_readlane_b32 s82, v3, 26                                 // 00000000CE18: D2890052 00013503
	s_and_b32 s82, s82, 0xffffff                               // 00000000CE20: 8652FF52 00FFFFFF
	s_cmp_lt_u32 s82, s66                                      // 00000000CE28: BF0A4252
	s_cselect_b32 s20, s36, s60                                // 00000000CE2C: 85143C24
	v_readlane_b32 s82, v3, 27                                 // 00000000CE30: D2890052 00013703
	s_and_b32 s82, s82, 0xffffff                               // 00000000CE38: 8652FF52 00FFFFFF
	s_cmp_lt_u32 s82, s66                                      // 00000000CE40: BF0A4252
	s_cselect_b32 s21, s36, s60                                // 00000000CE44: 85153C24
	s_mov_b64 exec, s[20:21]                                   // 00000000CE48: BEFE0114
	global_atomic_add_f32 v6, v137, s[8:9]                     // 00000000CE4C: DD348000 00088906
	s_mov_b64 exec, s[36:37]                                   // 00000000CE54: BEFE0124
	v_mov_b32_e32 v6, v76                                      // 00000000CE58: 7E0C034C
	s_mov_b64 s[60:61], 0                                      // 00000000CE5C: BEBC0180
	v_readlane_b32 s82, v3, 28                                 // 00000000CE60: D2890052 00013903
	s_and_b32 s82, s82, 0xffffff                               // 00000000CE68: 8652FF52 00FFFFFF
	s_cmp_lt_u32 s82, s66                                      // 00000000CE70: BF0A4252
	s_cselect_b32 s20, s36, s60                                // 00000000CE74: 85143C24
	v_readlane_b32 s82, v3, 29                                 // 00000000CE78: D2890052 00013B03
	s_and_b32 s82, s82, 0xffffff                               // 00000000CE80: 8652FF52 00FFFFFF
	s_cmp_lt_u32 s82, s66                                      // 00000000CE88: BF0A4252
	s_cselect_b32 s21, s36, s60                                // 00000000CE8C: 85153C24
	s_mov_b64 exec, s[20:21]                                   // 00000000CE90: BEFE0114
	global_atomic_add_f32 v6, v140, s[8:9]                     // 00000000CE94: DD348000 00088C06
	s_mov_b64 exec, s[36:37]                                   // 00000000CE9C: BEFE0124
	v_mov_b32_e32 v6, v77                                      // 00000000CEA0: 7E0C034D
	s_mov_b64 s[60:61], 0                                      // 00000000CEA4: BEBC0180
	v_readlane_b32 s82, v3, 30                                 // 00000000CEA8: D2890052 00013D03
	s_and_b32 s82, s82, 0xffffff                               // 00000000CEB0: 8652FF52 00FFFFFF
	s_cmp_lt_u32 s82, s66                                      // 00000000CEB8: BF0A4252
	s_cselect_b32 s20, s36, s60                                // 00000000CEBC: 85143C24
	v_readlane_b32 s82, v3, 31                                 // 00000000CEC0: D2890052 00013F03
	s_and_b32 s82, s82, 0xffffff                               // 00000000CEC8: 8652FF52 00FFFFFF
	s_cmp_lt_u32 s82, s66                                      // 00000000CED0: BF0A4252
	s_cselect_b32 s21, s36, s60                                // 00000000CED4: 85153C24
	s_mov_b64 exec, s[20:21]                                   // 00000000CED8: BEFE0114
	global_atomic_add_f32 v6, v141, s[8:9]                     // 00000000CEDC: DD348000 00088D06
	s_mov_b64 exec, s[36:37]                                   // 00000000CEE4: BEFE0124
	ds_write_b64 v20, v[114:115]                               // 00000000CEE8: D89A0000 00007214
	ds_write_b64 v20, v[118:119] offset:2176                   // 00000000CEF0: D89A0880 00007614
	ds_write_b64 v20, v[122:123] offset:4352                   // 00000000CEF8: D89A1100 00007A14
	ds_write_b64 v20, v[126:127] offset:6528                   // 00000000CF00: D89A1980 00007E14
	ds_write_b64 v20, v[130:131] offset:8704                   // 00000000CF08: D89A2200 00008214
	ds_write_b64 v20, v[134:135] offset:10880                  // 00000000CF10: D89A2A80 00008614
	ds_write_b64 v20, v[138:139] offset:13056                  // 00000000CF18: D89A3300 00008A14
	ds_write_b64 v20, v[142:143] offset:15232                  // 00000000CF20: D89A3B80 00008E14
	s_waitcnt lgkmcnt(0)                                       // 00000000CF28: BF8CC07F
	s_barrier                                                  // 00000000CF2C: BF8A0000
	ds_read_b32 v114, v21                                      // 00000000CF30: D86C0000 72000015
	ds_read_b32 v115, v21 offset:64                            // 00000000CF38: D86C0040 73000015
	ds_read_b32 v118, v21 offset:2176                          // 00000000CF40: D86C0880 76000015
	ds_read_b32 v119, v21 offset:2240                          // 00000000CF48: D86C08C0 77000015
	ds_read_b32 v122, v21 offset:4352                          // 00000000CF50: D86C1100 7A000015
	ds_read_b32 v123, v21 offset:4416                          // 00000000CF58: D86C1140 7B000015
	ds_read_b32 v126, v21 offset:6528                          // 00000000CF60: D86C1980 7E000015
	ds_read_b32 v127, v21 offset:6592                          // 00000000CF68: D86C19C0 7F000015
	ds_read_b32 v130, v21 offset:8704                          // 00000000CF70: D86C2200 82000015
	ds_read_b32 v131, v21 offset:8768                          // 00000000CF78: D86C2240 83000015
	ds_read_b32 v134, v21 offset:10880                         // 00000000CF80: D86C2A80 86000015
	ds_read_b32 v135, v21 offset:10944                         // 00000000CF88: D86C2AC0 87000015
	ds_read_b32 v138, v21 offset:13056                         // 00000000CF90: D86C3300 8A000015
	ds_read_b32 v139, v21 offset:13120                         // 00000000CF98: D86C3340 8B000015
	ds_read_b32 v142, v21 offset:15232                         // 00000000CFA0: D86C3B80 8E000015
	ds_read_b32 v143, v21 offset:15296                         // 00000000CFA8: D86C3BC0 8F000015
	s_waitcnt lgkmcnt(0)                                       // 00000000CFB0: BF8CC07F
	v_mov_b32_e32 v7, 0                                        // 00000000CFB4: 7E0E0280
	s_mov_b64 exec, s[36:37]                                   // 00000000CFB8: BEFE0124
	v_mov_b32_e32 v6, v62                                      // 00000000CFBC: 7E0C033E
	s_mov_b64 s[60:61], 0                                      // 00000000CFC0: BEBC0180
	v_readlane_b32 s82, v3, 0                                  // 00000000CFC4: D2890052 00010103
	s_and_b32 s82, s82, 0xffffff                               // 00000000CFCC: 8652FF52 00FFFFFF
	s_cmp_lt_u32 s82, s66                                      // 00000000CFD4: BF0A4252
	s_cselect_b32 s20, s36, s60                                // 00000000CFD8: 85143C24
	v_readlane_b32 s82, v3, 1                                  // 00000000CFDC: D2890052 00010303
	s_and_b32 s82, s82, 0xffffff                               // 00000000CFE4: 8652FF52 00FFFFFF
	s_cmp_lt_u32 s82, s66                                      // 00000000CFEC: BF0A4252
	s_cselect_b32 s21, s36, s60                                // 00000000CFF0: 85153C24
	s_mov_b64 exec, s[20:21]                                   // 00000000CFF4: BEFE0114
	global_atomic_add_f32 v6, v114, s[8:9] offset:8            // 00000000CFF8: DD348008 00087206
	s_mov_b64 exec, s[36:37]                                   // 00000000D000: BEFE0124
	v_mov_b32_e32 v6, v63                                      // 00000000D004: 7E0C033F
	s_mov_b64 s[60:61], 0                                      // 00000000D008: BEBC0180
	v_readlane_b32 s82, v3, 2                                  // 00000000D00C: D2890052 00010503
	s_and_b32 s82, s82, 0xffffff                               // 00000000D014: 8652FF52 00FFFFFF
	s_cmp_lt_u32 s82, s66                                      // 00000000D01C: BF0A4252
	s_cselect_b32 s20, s36, s60                                // 00000000D020: 85143C24
	v_readlane_b32 s82, v3, 3                                  // 00000000D024: D2890052 00010703
	s_and_b32 s82, s82, 0xffffff                               // 00000000D02C: 8652FF52 00FFFFFF
	s_cmp_lt_u32 s82, s66                                      // 00000000D034: BF0A4252
	s_cselect_b32 s21, s36, s60                                // 00000000D038: 85153C24
	s_mov_b64 exec, s[20:21]                                   // 00000000D03C: BEFE0114
	global_atomic_add_f32 v6, v115, s[8:9] offset:8            // 00000000D040: DD348008 00087306
	s_mov_b64 exec, s[36:37]                                   // 00000000D048: BEFE0124
	v_mov_b32_e32 v6, v64                                      // 00000000D04C: 7E0C0340
	s_mov_b64 s[60:61], 0                                      // 00000000D050: BEBC0180
	v_readlane_b32 s82, v3, 4                                  // 00000000D054: D2890052 00010903
	s_and_b32 s82, s82, 0xffffff                               // 00000000D05C: 8652FF52 00FFFFFF
	s_cmp_lt_u32 s82, s66                                      // 00000000D064: BF0A4252
	s_cselect_b32 s20, s36, s60                                // 00000000D068: 85143C24
	v_readlane_b32 s82, v3, 5                                  // 00000000D06C: D2890052 00010B03
	s_and_b32 s82, s82, 0xffffff                               // 00000000D074: 8652FF52 00FFFFFF
	s_cmp_lt_u32 s82, s66                                      // 00000000D07C: BF0A4252
	s_cselect_b32 s21, s36, s60                                // 00000000D080: 85153C24
	s_mov_b64 exec, s[20:21]                                   // 00000000D084: BEFE0114
	global_atomic_add_f32 v6, v118, s[8:9] offset:8            // 00000000D088: DD348008 00087606
	s_mov_b64 exec, s[36:37]                                   // 00000000D090: BEFE0124
	v_mov_b32_e32 v6, v65                                      // 00000000D094: 7E0C0341
	s_mov_b64 s[60:61], 0                                      // 00000000D098: BEBC0180
	v_readlane_b32 s82, v3, 6                                  // 00000000D09C: D2890052 00010D03
	s_and_b32 s82, s82, 0xffffff                               // 00000000D0A4: 8652FF52 00FFFFFF
	s_cmp_lt_u32 s82, s66                                      // 00000000D0AC: BF0A4252
	s_cselect_b32 s20, s36, s60                                // 00000000D0B0: 85143C24
	v_readlane_b32 s82, v3, 7                                  // 00000000D0B4: D2890052 00010F03
	s_and_b32 s82, s82, 0xffffff                               // 00000000D0BC: 8652FF52 00FFFFFF
	s_cmp_lt_u32 s82, s66                                      // 00000000D0C4: BF0A4252
	s_cselect_b32 s21, s36, s60                                // 00000000D0C8: 85153C24
	s_mov_b64 exec, s[20:21]                                   // 00000000D0CC: BEFE0114
	global_atomic_add_f32 v6, v119, s[8:9] offset:8            // 00000000D0D0: DD348008 00087706
	s_mov_b64 exec, s[36:37]                                   // 00000000D0D8: BEFE0124
	v_mov_b32_e32 v6, v66                                      // 00000000D0DC: 7E0C0342
	s_mov_b64 s[60:61], 0                                      // 00000000D0E0: BEBC0180
	v_readlane_b32 s82, v3, 8                                  // 00000000D0E4: D2890052 00011103
	s_and_b32 s82, s82, 0xffffff                               // 00000000D0EC: 8652FF52 00FFFFFF
	s_cmp_lt_u32 s82, s66                                      // 00000000D0F4: BF0A4252
	s_cselect_b32 s20, s36, s60                                // 00000000D0F8: 85143C24
	v_readlane_b32 s82, v3, 9                                  // 00000000D0FC: D2890052 00011303
	s_and_b32 s82, s82, 0xffffff                               // 00000000D104: 8652FF52 00FFFFFF
	s_cmp_lt_u32 s82, s66                                      // 00000000D10C: BF0A4252
	s_cselect_b32 s21, s36, s60                                // 00000000D110: 85153C24
	s_mov_b64 exec, s[20:21]                                   // 00000000D114: BEFE0114
	global_atomic_add_f32 v6, v122, s[8:9] offset:8            // 00000000D118: DD348008 00087A06
	s_mov_b64 exec, s[36:37]                                   // 00000000D120: BEFE0124
	v_mov_b32_e32 v6, v67                                      // 00000000D124: 7E0C0343
	s_mov_b64 s[60:61], 0                                      // 00000000D128: BEBC0180
	v_readlane_b32 s82, v3, 10                                 // 00000000D12C: D2890052 00011503
	s_and_b32 s82, s82, 0xffffff                               // 00000000D134: 8652FF52 00FFFFFF
	s_cmp_lt_u32 s82, s66                                      // 00000000D13C: BF0A4252
	s_cselect_b32 s20, s36, s60                                // 00000000D140: 85143C24
	v_readlane_b32 s82, v3, 11                                 // 00000000D144: D2890052 00011703
	s_and_b32 s82, s82, 0xffffff                               // 00000000D14C: 8652FF52 00FFFFFF
	s_cmp_lt_u32 s82, s66                                      // 00000000D154: BF0A4252
	s_cselect_b32 s21, s36, s60                                // 00000000D158: 85153C24
	s_mov_b64 exec, s[20:21]                                   // 00000000D15C: BEFE0114
	global_atomic_add_f32 v6, v123, s[8:9] offset:8            // 00000000D160: DD348008 00087B06
	s_mov_b64 exec, s[36:37]                                   // 00000000D168: BEFE0124
	v_mov_b32_e32 v6, v68                                      // 00000000D16C: 7E0C0344
	s_mov_b64 s[60:61], 0                                      // 00000000D170: BEBC0180
	v_readlane_b32 s82, v3, 12                                 // 00000000D174: D2890052 00011903
	s_and_b32 s82, s82, 0xffffff                               // 00000000D17C: 8652FF52 00FFFFFF
	s_cmp_lt_u32 s82, s66                                      // 00000000D184: BF0A4252
	s_cselect_b32 s20, s36, s60                                // 00000000D188: 85143C24
	v_readlane_b32 s82, v3, 13                                 // 00000000D18C: D2890052 00011B03
	s_and_b32 s82, s82, 0xffffff                               // 00000000D194: 8652FF52 00FFFFFF
	s_cmp_lt_u32 s82, s66                                      // 00000000D19C: BF0A4252
	s_cselect_b32 s21, s36, s60                                // 00000000D1A0: 85153C24
	s_mov_b64 exec, s[20:21]                                   // 00000000D1A4: BEFE0114
	global_atomic_add_f32 v6, v126, s[8:9] offset:8            // 00000000D1A8: DD348008 00087E06
	s_mov_b64 exec, s[36:37]                                   // 00000000D1B0: BEFE0124
	v_mov_b32_e32 v6, v69                                      // 00000000D1B4: 7E0C0345
	s_mov_b64 s[60:61], 0                                      // 00000000D1B8: BEBC0180
	v_readlane_b32 s82, v3, 14                                 // 00000000D1BC: D2890052 00011D03
	s_and_b32 s82, s82, 0xffffff                               // 00000000D1C4: 8652FF52 00FFFFFF
	s_cmp_lt_u32 s82, s66                                      // 00000000D1CC: BF0A4252
	s_cselect_b32 s20, s36, s60                                // 00000000D1D0: 85143C24
	v_readlane_b32 s82, v3, 15                                 // 00000000D1D4: D2890052 00011F03
	s_and_b32 s82, s82, 0xffffff                               // 00000000D1DC: 8652FF52 00FFFFFF
	s_cmp_lt_u32 s82, s66                                      // 00000000D1E4: BF0A4252
	s_cselect_b32 s21, s36, s60                                // 00000000D1E8: 85153C24
	s_mov_b64 exec, s[20:21]                                   // 00000000D1EC: BEFE0114
	global_atomic_add_f32 v6, v127, s[8:9] offset:8            // 00000000D1F0: DD348008 00087F06
	s_mov_b64 exec, s[36:37]                                   // 00000000D1F8: BEFE0124
	v_mov_b32_e32 v6, v70                                      // 00000000D1FC: 7E0C0346
	s_mov_b64 s[60:61], 0                                      // 00000000D200: BEBC0180
	v_readlane_b32 s82, v3, 16                                 // 00000000D204: D2890052 00012103
	s_and_b32 s82, s82, 0xffffff                               // 00000000D20C: 8652FF52 00FFFFFF
	s_cmp_lt_u32 s82, s66                                      // 00000000D214: BF0A4252
	s_cselect_b32 s20, s36, s60                                // 00000000D218: 85143C24
	v_readlane_b32 s82, v3, 17                                 // 00000000D21C: D2890052 00012303
	s_and_b32 s82, s82, 0xffffff                               // 00000000D224: 8652FF52 00FFFFFF
	s_cmp_lt_u32 s82, s66                                      // 00000000D22C: BF0A4252
	s_cselect_b32 s21, s36, s60                                // 00000000D230: 85153C24
	s_mov_b64 exec, s[20:21]                                   // 00000000D234: BEFE0114
	global_atomic_add_f32 v6, v130, s[8:9] offset:8            // 00000000D238: DD348008 00088206
	s_mov_b64 exec, s[36:37]                                   // 00000000D240: BEFE0124
	v_mov_b32_e32 v6, v71                                      // 00000000D244: 7E0C0347
	s_mov_b64 s[60:61], 0                                      // 00000000D248: BEBC0180
	v_readlane_b32 s82, v3, 18                                 // 00000000D24C: D2890052 00012503
	s_and_b32 s82, s82, 0xffffff                               // 00000000D254: 8652FF52 00FFFFFF
	s_cmp_lt_u32 s82, s66                                      // 00000000D25C: BF0A4252
	s_cselect_b32 s20, s36, s60                                // 00000000D260: 85143C24
	v_readlane_b32 s82, v3, 19                                 // 00000000D264: D2890052 00012703
	s_and_b32 s82, s82, 0xffffff                               // 00000000D26C: 8652FF52 00FFFFFF
	s_cmp_lt_u32 s82, s66                                      // 00000000D274: BF0A4252
	s_cselect_b32 s21, s36, s60                                // 00000000D278: 85153C24
	s_mov_b64 exec, s[20:21]                                   // 00000000D27C: BEFE0114
	global_atomic_add_f32 v6, v131, s[8:9] offset:8            // 00000000D280: DD348008 00088306
	s_mov_b64 exec, s[36:37]                                   // 00000000D288: BEFE0124
	v_mov_b32_e32 v6, v72                                      // 00000000D28C: 7E0C0348
	s_mov_b64 s[60:61], 0                                      // 00000000D290: BEBC0180
	v_readlane_b32 s82, v3, 20                                 // 00000000D294: D2890052 00012903
	s_and_b32 s82, s82, 0xffffff                               // 00000000D29C: 8652FF52 00FFFFFF
	s_cmp_lt_u32 s82, s66                                      // 00000000D2A4: BF0A4252
	s_cselect_b32 s20, s36, s60                                // 00000000D2A8: 85143C24
	v_readlane_b32 s82, v3, 21                                 // 00000000D2AC: D2890052 00012B03
	s_and_b32 s82, s82, 0xffffff                               // 00000000D2B4: 8652FF52 00FFFFFF
	s_cmp_lt_u32 s82, s66                                      // 00000000D2BC: BF0A4252
	s_cselect_b32 s21, s36, s60                                // 00000000D2C0: 85153C24
	s_mov_b64 exec, s[20:21]                                   // 00000000D2C4: BEFE0114
	global_atomic_add_f32 v6, v134, s[8:9] offset:8            // 00000000D2C8: DD348008 00088606
	s_mov_b64 exec, s[36:37]                                   // 00000000D2D0: BEFE0124
	v_mov_b32_e32 v6, v73                                      // 00000000D2D4: 7E0C0349
	s_mov_b64 s[60:61], 0                                      // 00000000D2D8: BEBC0180
	v_readlane_b32 s82, v3, 22                                 // 00000000D2DC: D2890052 00012D03
	s_and_b32 s82, s82, 0xffffff                               // 00000000D2E4: 8652FF52 00FFFFFF
	s_cmp_lt_u32 s82, s66                                      // 00000000D2EC: BF0A4252
	s_cselect_b32 s20, s36, s60                                // 00000000D2F0: 85143C24
	v_readlane_b32 s82, v3, 23                                 // 00000000D2F4: D2890052 00012F03
	s_and_b32 s82, s82, 0xffffff                               // 00000000D2FC: 8652FF52 00FFFFFF
	s_cmp_lt_u32 s82, s66                                      // 00000000D304: BF0A4252
	s_cselect_b32 s21, s36, s60                                // 00000000D308: 85153C24
	s_mov_b64 exec, s[20:21]                                   // 00000000D30C: BEFE0114
	global_atomic_add_f32 v6, v135, s[8:9] offset:8            // 00000000D310: DD348008 00088706
	s_mov_b64 exec, s[36:37]                                   // 00000000D318: BEFE0124
	v_mov_b32_e32 v6, v74                                      // 00000000D31C: 7E0C034A
	s_mov_b64 s[60:61], 0                                      // 00000000D320: BEBC0180
	v_readlane_b32 s82, v3, 24                                 // 00000000D324: D2890052 00013103
	s_and_b32 s82, s82, 0xffffff                               // 00000000D32C: 8652FF52 00FFFFFF
	s_cmp_lt_u32 s82, s66                                      // 00000000D334: BF0A4252
	s_cselect_b32 s20, s36, s60                                // 00000000D338: 85143C24
	v_readlane_b32 s82, v3, 25                                 // 00000000D33C: D2890052 00013303
	s_and_b32 s82, s82, 0xffffff                               // 00000000D344: 8652FF52 00FFFFFF
	s_cmp_lt_u32 s82, s66                                      // 00000000D34C: BF0A4252
	s_cselect_b32 s21, s36, s60                                // 00000000D350: 85153C24
	s_mov_b64 exec, s[20:21]                                   // 00000000D354: BEFE0114
	global_atomic_add_f32 v6, v138, s[8:9] offset:8            // 00000000D358: DD348008 00088A06
	s_mov_b64 exec, s[36:37]                                   // 00000000D360: BEFE0124
	v_mov_b32_e32 v6, v75                                      // 00000000D364: 7E0C034B
	s_mov_b64 s[60:61], 0                                      // 00000000D368: BEBC0180
	v_readlane_b32 s82, v3, 26                                 // 00000000D36C: D2890052 00013503
	s_and_b32 s82, s82, 0xffffff                               // 00000000D374: 8652FF52 00FFFFFF
	s_cmp_lt_u32 s82, s66                                      // 00000000D37C: BF0A4252
	s_cselect_b32 s20, s36, s60                                // 00000000D380: 85143C24
	v_readlane_b32 s82, v3, 27                                 // 00000000D384: D2890052 00013703
	s_and_b32 s82, s82, 0xffffff                               // 00000000D38C: 8652FF52 00FFFFFF
	s_cmp_lt_u32 s82, s66                                      // 00000000D394: BF0A4252
	s_cselect_b32 s21, s36, s60                                // 00000000D398: 85153C24
	s_mov_b64 exec, s[20:21]                                   // 00000000D39C: BEFE0114
	global_atomic_add_f32 v6, v139, s[8:9] offset:8            // 00000000D3A0: DD348008 00088B06
	s_mov_b64 exec, s[36:37]                                   // 00000000D3A8: BEFE0124
	v_mov_b32_e32 v6, v76                                      // 00000000D3AC: 7E0C034C
	s_mov_b64 s[60:61], 0                                      // 00000000D3B0: BEBC0180
	v_readlane_b32 s82, v3, 28                                 // 00000000D3B4: D2890052 00013903
	s_and_b32 s82, s82, 0xffffff                               // 00000000D3BC: 8652FF52 00FFFFFF
	s_cmp_lt_u32 s82, s66                                      // 00000000D3C4: BF0A4252
	s_cselect_b32 s20, s36, s60                                // 00000000D3C8: 85143C24
	v_readlane_b32 s82, v3, 29                                 // 00000000D3CC: D2890052 00013B03
	s_and_b32 s82, s82, 0xffffff                               // 00000000D3D4: 8652FF52 00FFFFFF
	s_cmp_lt_u32 s82, s66                                      // 00000000D3DC: BF0A4252
	s_cselect_b32 s21, s36, s60                                // 00000000D3E0: 85153C24
	s_mov_b64 exec, s[20:21]                                   // 00000000D3E4: BEFE0114
	global_atomic_add_f32 v6, v142, s[8:9] offset:8            // 00000000D3E8: DD348008 00088E06
	s_mov_b64 exec, s[36:37]                                   // 00000000D3F0: BEFE0124
	v_mov_b32_e32 v6, v77                                      // 00000000D3F4: 7E0C034D
	s_mov_b64 s[60:61], 0                                      // 00000000D3F8: BEBC0180
	v_readlane_b32 s82, v3, 30                                 // 00000000D3FC: D2890052 00013D03
	s_and_b32 s82, s82, 0xffffff                               // 00000000D404: 8652FF52 00FFFFFF
	s_cmp_lt_u32 s82, s66                                      // 00000000D40C: BF0A4252
	s_cselect_b32 s20, s36, s60                                // 00000000D410: 85143C24
	v_readlane_b32 s82, v3, 31                                 // 00000000D414: D2890052 00013F03
	s_and_b32 s82, s82, 0xffffff                               // 00000000D41C: 8652FF52 00FFFFFF
	s_cmp_lt_u32 s82, s66                                      // 00000000D424: BF0A4252
	s_cselect_b32 s21, s36, s60                                // 00000000D428: 85153C24
	s_mov_b64 exec, s[20:21]                                   // 00000000D42C: BEFE0114
	global_atomic_add_f32 v6, v143, s[8:9] offset:8            // 00000000D430: DD348008 00088F06
	s_mov_b64 exec, s[36:37]                                   // 00000000D438: BEFE0124
	s_branch label_2A93                                        // 00000000D43C: BF820000

000000000000d440 <label_2A93>:
	s_waitcnt vmcnt(0) expcnt(0) lgkmcnt(0)                    // 00000000D440: BF8C0000
	s_endpgm                                                   // 00000000D444: BF810000
